;; amdgpu-corpus repo=zjin-lcf/HeCBench kind=compiled arch=gfx90a opt=O3
	.text
	.amdgcn_target "amdgcn-amd-amdhsa--gfx90a"
	.amdhsa_code_object_version 6
	.protected	_Z9make_flagPcPiS_5BoxCU10outer_walliiii ; -- Begin function _Z9make_flagPcPiS_5BoxCU10outer_walliiii
	.globl	_Z9make_flagPcPiS_5BoxCU10outer_walliiii
	.p2align	8
	.type	_Z9make_flagPcPiS_5BoxCU10outer_walliiii,@function
_Z9make_flagPcPiS_5BoxCU10outer_walliiii: ; @_Z9make_flagPcPiS_5BoxCU10outer_walliiii
; %bb.0:
	s_load_dwordx2 s[0:1], s[4:5], 0x28
                                        ; implicit-def: $vgpr25 : SGPR spill to VGPR lane
	v_writelane_b32 v25, s6, 0
	v_writelane_b32 v25, s8, 1
	s_waitcnt lgkmcnt(0)
	v_writelane_b32 v25, s0, 2
	s_cmp_ge_i32 s8, s1
	v_writelane_b32 v25, s1, 3
	s_cbranch_scc1 .LBB0_103
; %bb.1:
	s_load_dword s0, s[4:5], 0x64
	s_load_dwordx4 s[12:15], s[4:5], 0x30
	s_add_u32 s2, s4, 0x58
	s_addc_u32 s3, s5, 0
	s_mov_b32 s10, s7
	s_waitcnt lgkmcnt(0)
	s_lshr_b32 s11, s0, 16
	s_cmp_gt_i32 s13, 6
	v_writelane_b32 v25, s2, 4
	s_cselect_b64 s[30:31], -1, 0
	s_getpc_b64 s[6:7]
	s_add_u32 s6, s6, _ZL3C_p@gotpcrel32@lo+4
	s_addc_u32 s7, s7, _ZL3C_p@gotpcrel32@hi+12
	s_load_dwordx2 s[28:29], s[4:5], 0x5c
	v_writelane_b32 v25, s3, 5
	s_load_dwordx2 s[20:21], s[6:7], 0x0
	s_load_dwordx2 s[34:35], s[4:5], 0x40
	s_load_dwordx4 s[0:3], s[4:5], 0x48
	s_waitcnt lgkmcnt(0)
	s_ashr_i32 s3, s13, 31
	s_load_dwordx4 s[16:19], s[4:5], 0x18
	s_load_dwordx2 s[26:27], s[4:5], 0x28
	s_add_u32 s36, s20, s13
	s_addc_u32 s37, s21, s3
	s_cmp_lg_u32 s13, 7
	s_cselect_b64 s[6:7], -1, 0
	v_writelane_b32 v25, s6, 6
	s_cmp_lg_u32 s13, 8
	v_writelane_b32 v25, s7, 7
	s_cselect_b64 s[6:7], -1, 0
	s_cmp_eq_u32 s13, 4
	s_cselect_b64 s[8:9], -1, 0
	s_cmp_gt_i32 s12, 6
	s_cselect_b64 s[42:43], -1, 0
	s_ashr_i32 s3, s12, 31
	s_add_u32 s44, s20, s12
	s_addc_u32 s45, s21, s3
	s_cmp_lg_u32 s12, 7
	v_writelane_b32 v25, s8, 8
	s_cselect_b64 s[46:47], -1, 0
	s_cmp_lg_u32 s12, 8
	v_writelane_b32 v25, s9, 9
	s_cselect_b64 s[8:9], -1, 0
	s_cmp_eq_u32 s12, 4
	s_cselect_b64 s[48:49], -1, 0
	s_add_i32 s1, s1, -1
	s_cmp_gt_i32 s15, 6
	v_writelane_b32 v25, s1, 10
	s_cselect_b64 s[50:51], -1, 0
	s_ashr_i32 s1, s15, 31
	s_add_u32 s52, s20, s15
	s_addc_u32 s53, s21, s1
	s_cmp_lg_u32 s15, 7
	s_cselect_b64 s[22:23], -1, 0
	v_writelane_b32 v25, s22, 11
	s_cmp_lg_u32 s15, 8
	v_writelane_b32 v25, s23, 12
	s_cselect_b64 s[22:23], -1, 0
	s_cmp_eq_u32 s15, 4
	s_cselect_b64 s[56:57], -1, 0
	s_cmp_gt_i32 s14, 6
	s_cselect_b64 s[58:59], -1, 0
	s_ashr_i32 s1, s14, 31
	s_add_u32 s60, s20, s14
	s_addc_u32 s61, s21, s1
	s_cmp_lg_u32 s14, 7
	s_cselect_b64 s[62:63], -1, 0
	s_cmp_lg_u32 s14, 8
	s_cselect_b64 s[24:25], -1, 0
	s_cmp_eq_u32 s14, 4
	s_cselect_b64 s[64:65], -1, 0
	s_add_i32 s1, s2, -1
	s_cmp_gt_i32 s35, 6
	v_writelane_b32 v25, s1, 13
	s_cselect_b64 s[66:67], -1, 0
	s_ashr_i32 s1, s35, 31
	s_add_u32 s68, s20, s35
	s_addc_u32 s69, s21, s1
	s_cmp_lg_u32 s35, 7
	s_cselect_b64 s[70:71], -1, 0
	s_cmp_lg_u32 s35, 8
	s_cselect_b64 s[2:3], -1, 0
	s_cmp_eq_u32 s35, 4
	s_cselect_b64 s[72:73], -1, 0
	s_cmp_gt_i32 s34, 6
	s_cselect_b64 s[74:75], -1, 0
	s_ashr_i32 s1, s34, 31
	s_add_u32 s76, s20, s34
	s_addc_u32 s77, s21, s1
	s_cmp_lg_u32 s34, 7
	s_cselect_b64 s[78:79], -1, 0
	s_cmp_lg_u32 s34, 8
	s_cselect_b64 s[20:21], -1, 0
	s_cmp_eq_u32 s34, 4
	s_cselect_b64 s[80:81], -1, 0
	s_waitcnt lgkmcnt(0)
	s_abs_i32 s38, s17
	v_cvt_f32_u32_e32 v1, s38
	s_abs_i32 s39, s19
	v_cvt_f32_u32_e32 v3, s39
	s_not_b32 s33, s16
	v_rcp_iflag_f32_e32 v1, v1
	s_mul_i32 s10, s10, s11
	v_bfe_u32 v2, v0, 10, 10
	s_add_i32 s33, s33, s0
	v_mul_f32_e32 v1, 0x4f7ffffe, v1
	v_cvt_u32_f32_e32 v1, v1
	v_add_u32_e32 v4, s10, v2
	v_rcp_iflag_f32_e32 v2, v3
	s_sub_i32 s0, 0, s38
	v_readfirstlane_b32 s1, v1
	s_mul_i32 s0, s0, s1
	s_mul_hi_u32 s0, s1, s0
	s_add_i32 s40, s1, s0
	s_abs_i32 s1, s27
	v_mul_f32_e32 v1, 0x4f7ffffe, v2
	v_cvt_f32_u32_e32 v2, s1
	v_cvt_u32_f32_e32 v1, v1
	s_sub_i32 s0, 0, s39
	v_writelane_b32 v25, s28, 14
	v_rcp_iflag_f32_e32 v2, v2
	v_mul_lo_u32 v3, s0, v1
	v_writelane_b32 v25, s29, 15
	s_mul_i32 s0, s28, s11
	v_mul_f32_e32 v2, 0x4f7ffffe, v2
	v_cvt_u32_f32_e32 v2, v2
	v_writelane_b32 v25, s0, 16
	v_writelane_b32 v25, s1, 17
	s_sub_i32 s0, 0, s1
	v_readfirstlane_b32 s1, v2
	s_mul_i32 s0, s0, s1
	s_mul_hi_u32 s0, s1, s0
	s_add_i32 s0, s1, s0
	v_writelane_b32 v25, s0, 18
	s_xor_b64 s[0:1], s[6:7], -1
	v_writelane_b32 v25, s0, 19
	v_writelane_b32 v25, s1, 20
	s_xor_b64 s[0:1], s[22:23], -1
	v_writelane_b32 v25, s0, 21
	s_xor_b64 s[92:93], s[20:21], -1
	s_load_dwordx2 s[94:95], s[4:5], 0x10
	s_load_dwordx4 s[20:23], s[4:5], 0x0
	v_writelane_b32 v25, s1, 22
	s_xor_b64 s[0:1], s[2:3], -1
	v_writelane_b32 v25, s0, 23
	v_and_b32_e32 v5, 0x3ff, v0
	v_mul_hi_u32 v0, v1, v3
	v_writelane_b32 v25, s1, 24
	v_cmp_gt_i32_e64 s[0:1], s19, v4
	v_add_u32_e32 v6, v1, v0
	s_sub_i32 s16, 0, s16
	v_mov_b32_e32 v7, 0
	v_mov_b32_e32 v8, 4
	s_xor_b64 s[84:85], s[8:9], -1
	s_xor_b64 s[88:89], s[24:25], -1
	v_mov_b32_e32 v9, 1
	v_mov_b32_e32 v10, 9
	;; [unrolled: 1-line block ×5, first 2 shown]
	s_movk_i32 s41, 0xfd
	v_writelane_b32 v25, s0, 25
	v_writelane_b32 v25, s1, 26
	s_branch .LBB0_3
.LBB0_2:                                ;   in Loop: Header=BB0_3 Depth=1
	v_readlane_b32 s0, v25, 27
	v_readlane_b32 s1, v25, 28
	s_or_b64 exec, exec, s[0:1]
	v_readlane_b32 s2, v25, 14
	v_readlane_b32 s0, v25, 1
	;; [unrolled: 1-line block ×3, first 2 shown]
	s_add_i32 s0, s3, s0
	v_writelane_b32 v25, s0, 1
	v_readlane_b32 s2, v25, 2
	v_readlane_b32 s3, v25, 3
	s_cmp_ge_i32 s0, s3
	s_cbranch_scc1 .LBB0_103
.LBB0_3:                                ; =>This Loop Header: Depth=1
                                        ;     Child Loop BB0_6 Depth 2
                                        ;       Child Loop BB0_10 Depth 3
	s_mov_b64 s[2:3], exec
	v_readlane_b32 s0, v25, 25
	v_readlane_b32 s1, v25, 26
	v_writelane_b32 v25, s2, 27
	s_and_b64 s[0:1], s[2:3], s[0:1]
	v_writelane_b32 v25, s3, 28
	s_mov_b64 exec, s[0:1]
	s_cbranch_execz .LBB0_2
; %bb.4:                                ;   in Loop: Header=BB0_3 Depth=1
	v_readlane_b32 s2, v25, 4
	v_readlane_b32 s3, v25, 5
	s_load_dword s0, s[2:3], 0xc
	s_load_dword s54, s[2:3], 0x0
	v_readlane_b32 s3, v25, 0
	v_readlane_b32 s4, v25, 2
	;; [unrolled: 1-line block ×3, first 2 shown]
	s_waitcnt lgkmcnt(0)
	s_and_b32 s0, s0, 0xffff
	s_mul_i32 s3, s3, s0
	v_readlane_b32 s5, v25, 3
	v_add_u32_e32 v14, s3, v5
	s_add_i32 s1, s2, s5
	s_add_i32 s2, s2, s4
	v_cmp_gt_i32_e64 s[4:5], s17, v14
	v_writelane_b32 v25, s4, 29
	v_writelane_b32 v25, s5, 30
	s_cmp_lg_u32 s2, 0
	v_readlane_b32 s3, v25, 13
	s_cselect_b64 s[6:7], -1, 0
	s_cmp_eq_u32 s2, s3
	s_cselect_b64 s[24:25], -1, 0
	s_mul_i32 s54, s54, s0
	s_ashr_i32 s0, s1, 31
	s_abs_i32 s1, s1
	v_readlane_b32 s2, v25, 18
	s_mul_hi_u32 s2, s1, s2
	v_readlane_b32 s3, v25, 17
	s_mul_i32 s2, s2, s3
	s_sub_i32 s1, s1, s2
	s_sub_i32 s2, s1, s3
	s_cmp_ge_u32 s1, s3
	s_cselect_b32 s1, s2, s1
	s_sub_i32 s2, s1, s3
	s_cmp_ge_u32 s1, s3
	s_cselect_b32 s1, s2, s1
	s_xor_b32 s1, s1, s0
	s_sub_i32 s55, s1, s0
	s_mul_i32 s55, s55, s19
	s_mov_b64 s[26:27], 0
	v_mov_b32_e32 v15, v4
	s_branch .LBB0_6
.LBB0_5:                                ;   in Loop: Header=BB0_6 Depth=2
	s_or_b64 exec, exec, s[0:1]
	v_readlane_b32 s0, v25, 16
	v_add_u32_e32 v15, s0, v15
	v_cmp_le_i32_e32 vcc, s19, v15
	s_or_b64 s[26:27], vcc, s[26:27]
	s_andn2_b64 exec, exec, s[26:27]
	s_cbranch_execz .LBB0_2
.LBB0_6:                                ;   Parent Loop BB0_3 Depth=1
                                        ; =>  This Loop Header: Depth=2
                                        ;       Child Loop BB0_10 Depth 3
	s_mov_b64 s[0:1], exec
	v_readlane_b32 s2, v25, 29
	v_readlane_b32 s3, v25, 30
	s_and_b64 s[2:3], s[0:1], s[2:3]
	s_mov_b64 exec, s[2:3]
	s_cbranch_execz .LBB0_5
; %bb.7:                                ;   in Loop: Header=BB0_6 Depth=2
	v_add_u32_e32 v0, s19, v15
	v_add_u32_e32 v1, s18, v15
	v_readlane_b32 s2, v25, 10
	v_sub_u32_e32 v2, 0, v0
	v_cmp_ne_u32_e64 s[4:5], 0, v1
	v_cmp_eq_u32_e64 s[10:11], s2, v1
	v_ashrrev_i32_e32 v1, 31, v0
	v_max_i32_e32 v0, v0, v2
	v_mul_hi_u32 v2, v0, v6
	v_mul_lo_u32 v2, v2, s39
	v_sub_u32_e32 v0, v0, v2
	v_subrev_u32_e32 v2, s39, v0
	v_cmp_le_u32_e32 vcc, s39, v0
	v_cndmask_b32_e32 v0, v0, v2, vcc
	v_subrev_u32_e32 v2, s39, v0
	v_cmp_le_u32_e32 vcc, s39, v0
	v_cndmask_b32_e32 v0, v0, v2, vcc
	v_xor_b32_e32 v0, v0, v1
	v_sub_u32_e32 v0, v0, v1
	v_add_u32_e32 v0, s55, v0
	v_mul_lo_u32 v16, v0, s17
	s_mov_b64 s[28:29], 0
	v_mov_b32_e32 v17, v14
	s_branch .LBB0_10
.LBB0_8:                                ;   in Loop: Header=BB0_10 Depth=3
	s_or_b64 exec, exec, s[8:9]
.LBB0_9:                                ;   in Loop: Header=BB0_10 Depth=3
	v_add_u32_e32 v17, s54, v17
	v_cmp_le_i32_e32 vcc, s17, v17
	s_or_b64 s[28:29], vcc, s[28:29]
	s_andn2_b64 exec, exec, s[28:29]
	s_cbranch_execz .LBB0_5
.LBB0_10:                               ;   Parent Loop BB0_3 Depth=1
                                        ;     Parent Loop BB0_6 Depth=2
                                        ; =>    This Inner Loop Header: Depth=3
	v_cmp_ne_u32_e32 vcc, s16, v17
	s_and_saveexec_b64 s[2:3], vcc
	s_xor_b64 s[82:83], exec, s[2:3]
	s_cbranch_execnz .LBB0_13
; %bb.11:                               ;   in Loop: Header=BB0_10 Depth=3
	s_andn2_saveexec_b64 s[8:9], s[82:83]
	s_cbranch_execnz .LBB0_28
.LBB0_12:                               ;   in Loop: Header=BB0_10 Depth=3
	s_or_b64 exec, exec, s[8:9]
	s_and_saveexec_b64 s[2:3], s[4:5]
	s_xor_b64 s[82:83], exec, s[2:3]
	s_cbranch_execnz .LBB0_42
	s_branch .LBB0_57
.LBB0_13:                               ;   in Loop: Header=BB0_10 Depth=3
	v_cmp_eq_u32_e32 vcc, s33, v17
	s_and_saveexec_b64 s[8:9], vcc
	s_cbranch_execz .LBB0_27
; %bb.14:                               ;   in Loop: Header=BB0_10 Depth=3
	s_add_i32 s2, s17, s33
	s_ashr_i32 s3, s2, 31
	s_abs_i32 s2, s2
	s_mul_hi_u32 s86, s2, s40
	s_mul_i32 s86, s86, s38
	s_sub_i32 s2, s2, s86
	s_sub_i32 s86, s2, s38
	s_cmp_ge_u32 s2, s38
	s_cselect_b32 s2, s86, s2
	s_sub_i32 s86, s2, s38
	s_cmp_ge_u32 s2, s38
	s_cselect_b32 s2, s86, s2
	s_xor_b32 s2, s2, s3
	s_sub_i32 s2, s2, s3
	v_add_u32_e32 v2, s2, v16
	s_andn2_b64 vcc, exec, s[30:31]
	v_ashrrev_i32_e32 v3, 31, v2
	s_cbranch_vccnz .LBB0_16
; %bb.15:                               ;   in Loop: Header=BB0_10 Depth=3
	v_mov_b32_e32 v1, s95
	v_add_co_u32_e32 v0, vcc, s94, v2
	v_addc_co_u32_e32 v1, vcc, v1, v3, vcc
	global_store_byte v[0:1], v9, off
.LBB0_16:                               ;   in Loop: Header=BB0_10 Depth=3
	v_mov_b32_e32 v1, s21
	v_add_co_u32_e32 v0, vcc, s20, v2
	v_addc_co_u32_e32 v1, vcc, v1, v3, vcc
	global_load_ubyte v18, v[0:1], off
	s_getpc_b64 s[2:3]
	s_add_u32 s2, s2, _ZL3C_p@gotpcrel32@lo+4
	s_addc_u32 s3, s3, _ZL3C_p@gotpcrel32@hi+12
	s_load_dwordx2 s[2:3], s[2:3], 0x0
	s_waitcnt lgkmcnt(0)
	v_mov_b32_e32 v19, s3
	s_waitcnt vmcnt(0)
	v_bfe_i32 v20, v18, 0, 8
	v_ashrrev_i32_e32 v21, 31, v20
	v_add_co_u32_e32 v20, vcc, s2, v20
	v_addc_co_u32_e32 v21, vcc, v19, v21, vcc
	global_load_sbyte v19, v[20:21], off
	s_nop 0
	global_load_sbyte v20, v7, s[36:37]
	s_waitcnt vmcnt(0)
	v_cmp_ge_i16_e32 vcc, v19, v20
	s_and_saveexec_b64 s[2:3], vcc
	s_xor_b64 s[86:87], exec, s[2:3]
	s_cbranch_execz .LBB0_24
; %bb.17:                               ;   in Loop: Header=BB0_10 Depth=3
	v_readlane_b32 s2, v25, 6
	v_readlane_b32 s3, v25, 7
	s_andn2_b64 vcc, exec, s[2:3]
	v_cmp_ne_u16_sdwa s[2:3], v18, v8 src0_sel:BYTE_0 src1_sel:DWORD
	s_cbranch_vccnz .LBB0_19
; %bb.18:                               ;   in Loop: Header=BB0_10 Depth=3
	v_add_u16_e32 v2, -9, v18
	v_readlane_b32 vcc_lo, v25, 19
	v_cmp_gt_u16_sdwa s[90:91], v2, s41 src0_sel:BYTE_0 src1_sel:DWORD
	v_readlane_b32 vcc_hi, v25, 20
	s_or_b64 s[90:91], vcc, s[90:91]
	s_and_b64 s[90:91], s[2:3], s[90:91]
	s_and_b64 s[90:91], s[90:91], exec
	s_cbranch_execz .LBB0_20
	s_branch .LBB0_21
.LBB0_19:                               ;   in Loop: Header=BB0_10 Depth=3
	s_mov_b64 s[90:91], 0
.LBB0_20:                               ;   in Loop: Header=BB0_10 Depth=3
	s_andn2_b64 s[90:91], s[90:91], exec
	s_and_b64 s[2:3], s[2:3], exec
	s_or_b64 s[90:91], s[90:91], s[2:3]
.LBB0_21:                               ;   in Loop: Header=BB0_10 Depth=3
	s_and_saveexec_b64 s[2:3], s[90:91]
	s_cbranch_execz .LBB0_23
; %bb.22:                               ;   in Loop: Header=BB0_10 Depth=3
	global_store_byte v[0:1], v10, off
.LBB0_23:                               ;   in Loop: Header=BB0_10 Depth=3
	s_or_b64 exec, exec, s[2:3]
                                        ; implicit-def: $vgpr0_vgpr1
                                        ; implicit-def: $vgpr2_vgpr3
.LBB0_24:                               ;   in Loop: Header=BB0_10 Depth=3
	s_andn2_saveexec_b64 s[2:3], s[86:87]
	s_cbranch_execz .LBB0_27
; %bb.25:                               ;   in Loop: Header=BB0_10 Depth=3
	v_readlane_b32 s2, v25, 8
	v_readlane_b32 s3, v25, 9
	v_mov_b32_e32 v18, s13
	s_andn2_b64 vcc, exec, s[2:3]
	global_store_byte v[0:1], v18, off
	s_cbranch_vccnz .LBB0_27
; %bb.26:                               ;   in Loop: Header=BB0_10 Depth=3
	v_lshlrev_b64 v[0:1], 2, v[2:3]
	v_mov_b32_e32 v2, s23
	v_add_co_u32_e32 v0, vcc, s22, v0
	v_addc_co_u32_e32 v1, vcc, v2, v1, vcc
	global_store_dword v[0:1], v8, off
.LBB0_27:                               ;   in Loop: Header=BB0_10 Depth=3
	s_or_b64 exec, exec, s[8:9]
	s_andn2_saveexec_b64 s[8:9], s[82:83]
	s_cbranch_execz .LBB0_12
.LBB0_28:                               ;   in Loop: Header=BB0_10 Depth=3
	s_add_i32 s2, s17, s16
	s_ashr_i32 s3, s2, 31
	s_abs_i32 s2, s2
	s_mul_hi_u32 s82, s2, s40
	s_mul_i32 s82, s82, s38
	s_sub_i32 s2, s2, s82
	s_sub_i32 s82, s2, s38
	s_cmp_ge_u32 s2, s38
	s_cselect_b32 s2, s82, s2
	s_sub_i32 s82, s2, s38
	s_cmp_ge_u32 s2, s38
	s_cselect_b32 s2, s82, s2
	s_xor_b32 s2, s2, s3
	s_sub_i32 s2, s2, s3
	v_add_u32_e32 v2, s2, v16
	s_andn2_b64 vcc, exec, s[42:43]
	v_ashrrev_i32_e32 v3, 31, v2
	s_cbranch_vccnz .LBB0_30
; %bb.29:                               ;   in Loop: Header=BB0_10 Depth=3
	v_mov_b32_e32 v1, s95
	v_add_co_u32_e32 v0, vcc, s94, v2
	v_addc_co_u32_e32 v1, vcc, v1, v3, vcc
	global_store_byte v[0:1], v7, off
.LBB0_30:                               ;   in Loop: Header=BB0_10 Depth=3
	v_mov_b32_e32 v1, s21
	v_add_co_u32_e32 v0, vcc, s20, v2
	v_addc_co_u32_e32 v1, vcc, v1, v3, vcc
	global_load_ubyte v18, v[0:1], off
	s_getpc_b64 s[2:3]
	s_add_u32 s2, s2, _ZL3C_p@gotpcrel32@lo+4
	s_addc_u32 s3, s3, _ZL3C_p@gotpcrel32@hi+12
	s_load_dwordx2 s[2:3], s[2:3], 0x0
	s_waitcnt lgkmcnt(0)
	v_mov_b32_e32 v19, s3
	s_waitcnt vmcnt(0)
	v_bfe_i32 v20, v18, 0, 8
	v_ashrrev_i32_e32 v21, 31, v20
	v_add_co_u32_e32 v20, vcc, s2, v20
	v_addc_co_u32_e32 v21, vcc, v19, v21, vcc
	global_load_sbyte v19, v[20:21], off
	s_nop 0
	global_load_sbyte v20, v7, s[44:45]
	s_waitcnt vmcnt(0)
	v_cmp_ge_i16_e32 vcc, v19, v20
	s_and_saveexec_b64 s[2:3], vcc
	s_xor_b64 s[82:83], exec, s[2:3]
	s_cbranch_execz .LBB0_38
; %bb.31:                               ;   in Loop: Header=BB0_10 Depth=3
	s_andn2_b64 vcc, exec, s[46:47]
	v_cmp_ne_u16_sdwa s[2:3], v18, v8 src0_sel:BYTE_0 src1_sel:DWORD
	s_cbranch_vccnz .LBB0_33
; %bb.32:                               ;   in Loop: Header=BB0_10 Depth=3
	v_add_u16_e32 v2, -9, v18
	v_cmp_gt_u16_sdwa s[86:87], v2, s41 src0_sel:BYTE_0 src1_sel:DWORD
	s_or_b64 s[86:87], s[84:85], s[86:87]
	s_and_b64 s[86:87], s[2:3], s[86:87]
	s_and_b64 s[86:87], s[86:87], exec
	s_cbranch_execz .LBB0_34
	s_branch .LBB0_35
.LBB0_33:                               ;   in Loop: Header=BB0_10 Depth=3
	s_mov_b64 s[86:87], 0
.LBB0_34:                               ;   in Loop: Header=BB0_10 Depth=3
	s_andn2_b64 s[86:87], s[86:87], exec
	s_and_b64 s[2:3], s[2:3], exec
	s_or_b64 s[86:87], s[86:87], s[2:3]
.LBB0_35:                               ;   in Loop: Header=BB0_10 Depth=3
	s_and_saveexec_b64 s[2:3], s[86:87]
	s_cbranch_execz .LBB0_37
; %bb.36:                               ;   in Loop: Header=BB0_10 Depth=3
	global_store_byte v[0:1], v10, off
.LBB0_37:                               ;   in Loop: Header=BB0_10 Depth=3
	s_or_b64 exec, exec, s[2:3]
                                        ; implicit-def: $vgpr0_vgpr1
                                        ; implicit-def: $vgpr2_vgpr3
.LBB0_38:                               ;   in Loop: Header=BB0_10 Depth=3
	s_andn2_saveexec_b64 s[82:83], s[82:83]
	s_cbranch_execz .LBB0_41
; %bb.39:                               ;   in Loop: Header=BB0_10 Depth=3
	v_mov_b32_e32 v18, s12
	s_andn2_b64 vcc, exec, s[48:49]
	global_store_byte v[0:1], v18, off
	s_cbranch_vccnz .LBB0_41
; %bb.40:                               ;   in Loop: Header=BB0_10 Depth=3
	v_lshlrev_b64 v[0:1], 2, v[2:3]
	v_mov_b32_e32 v2, s23
	v_add_co_u32_e32 v0, vcc, s22, v0
	v_addc_co_u32_e32 v1, vcc, v2, v1, vcc
	global_store_dword v[0:1], v8, off
.LBB0_41:                               ;   in Loop: Header=BB0_10 Depth=3
	s_or_b64 exec, exec, s[82:83]
	s_or_b64 exec, exec, s[8:9]
	s_and_saveexec_b64 s[2:3], s[4:5]
	s_xor_b64 s[82:83], exec, s[2:3]
	s_cbranch_execz .LBB0_57
.LBB0_42:                               ;   in Loop: Header=BB0_10 Depth=3
	s_and_saveexec_b64 s[8:9], s[10:11]
	s_cbranch_execz .LBB0_56
; %bb.43:                               ;   in Loop: Header=BB0_10 Depth=3
	v_add_u32_e32 v0, s17, v17
	v_sub_u32_e32 v2, 0, v0
	v_ashrrev_i32_e32 v1, 31, v0
	v_max_i32_e32 v0, v0, v2
	v_mul_hi_u32 v2, v0, s40
	v_mul_lo_u32 v2, v2, s38
	v_sub_u32_e32 v0, v0, v2
	v_subrev_u32_e32 v2, s38, v0
	v_cmp_le_u32_e32 vcc, s38, v0
	v_cndmask_b32_e32 v0, v0, v2, vcc
	v_subrev_u32_e32 v2, s38, v0
	v_cmp_le_u32_e32 vcc, s38, v0
	v_cndmask_b32_e32 v0, v0, v2, vcc
	v_xor_b32_e32 v0, v0, v1
	v_sub_u32_e32 v0, v0, v1
	v_add_u32_e32 v2, v16, v0
	s_andn2_b64 vcc, exec, s[50:51]
	v_ashrrev_i32_e32 v3, 31, v2
	s_cbranch_vccnz .LBB0_45
; %bb.44:                               ;   in Loop: Header=BB0_10 Depth=3
	v_mov_b32_e32 v1, s95
	v_add_co_u32_e32 v0, vcc, s94, v2
	v_addc_co_u32_e32 v1, vcc, v1, v3, vcc
	global_store_byte v[0:1], v11, off
.LBB0_45:                               ;   in Loop: Header=BB0_10 Depth=3
	v_mov_b32_e32 v1, s21
	v_add_co_u32_e32 v0, vcc, s20, v2
	v_addc_co_u32_e32 v1, vcc, v1, v3, vcc
	global_load_ubyte v18, v[0:1], off
	s_getpc_b64 s[2:3]
	s_add_u32 s2, s2, _ZL3C_p@gotpcrel32@lo+4
	s_addc_u32 s3, s3, _ZL3C_p@gotpcrel32@hi+12
	s_load_dwordx2 s[2:3], s[2:3], 0x0
	s_waitcnt lgkmcnt(0)
	v_mov_b32_e32 v19, s3
	s_waitcnt vmcnt(0)
	v_bfe_i32 v20, v18, 0, 8
	v_ashrrev_i32_e32 v21, 31, v20
	v_add_co_u32_e32 v20, vcc, s2, v20
	v_addc_co_u32_e32 v21, vcc, v19, v21, vcc
	global_load_sbyte v19, v[20:21], off
	s_nop 0
	global_load_sbyte v20, v7, s[52:53]
	s_waitcnt vmcnt(0)
	v_cmp_ge_i16_e32 vcc, v19, v20
	s_and_saveexec_b64 s[2:3], vcc
	s_xor_b64 s[86:87], exec, s[2:3]
	s_cbranch_execz .LBB0_53
; %bb.46:                               ;   in Loop: Header=BB0_10 Depth=3
	v_readlane_b32 s2, v25, 11
	v_readlane_b32 s3, v25, 12
	s_andn2_b64 vcc, exec, s[2:3]
	v_cmp_ne_u16_sdwa s[2:3], v18, v8 src0_sel:BYTE_0 src1_sel:DWORD
	s_cbranch_vccnz .LBB0_48
; %bb.47:                               ;   in Loop: Header=BB0_10 Depth=3
	v_add_u16_e32 v2, -9, v18
	v_readlane_b32 vcc_lo, v25, 21
	v_cmp_gt_u16_sdwa s[90:91], v2, s41 src0_sel:BYTE_0 src1_sel:DWORD
	v_readlane_b32 vcc_hi, v25, 22
	s_or_b64 s[90:91], vcc, s[90:91]
	s_and_b64 s[90:91], s[2:3], s[90:91]
	s_and_b64 s[90:91], s[90:91], exec
	s_cbranch_execz .LBB0_49
	s_branch .LBB0_50
.LBB0_48:                               ;   in Loop: Header=BB0_10 Depth=3
	s_mov_b64 s[90:91], 0
.LBB0_49:                               ;   in Loop: Header=BB0_10 Depth=3
	s_andn2_b64 s[90:91], s[90:91], exec
	s_and_b64 s[2:3], s[2:3], exec
	s_or_b64 s[90:91], s[90:91], s[2:3]
.LBB0_50:                               ;   in Loop: Header=BB0_10 Depth=3
	s_and_saveexec_b64 s[2:3], s[90:91]
	s_cbranch_execz .LBB0_52
; %bb.51:                               ;   in Loop: Header=BB0_10 Depth=3
	global_store_byte v[0:1], v10, off
.LBB0_52:                               ;   in Loop: Header=BB0_10 Depth=3
	s_or_b64 exec, exec, s[2:3]
                                        ; implicit-def: $vgpr0_vgpr1
                                        ; implicit-def: $vgpr2_vgpr3
.LBB0_53:                               ;   in Loop: Header=BB0_10 Depth=3
	s_andn2_saveexec_b64 s[2:3], s[86:87]
	s_cbranch_execz .LBB0_56
; %bb.54:                               ;   in Loop: Header=BB0_10 Depth=3
	v_mov_b32_e32 v18, s15
	s_andn2_b64 vcc, exec, s[56:57]
	global_store_byte v[0:1], v18, off
	s_cbranch_vccnz .LBB0_56
; %bb.55:                               ;   in Loop: Header=BB0_10 Depth=3
	v_lshlrev_b64 v[0:1], 2, v[2:3]
	v_mov_b32_e32 v2, s23
	v_add_co_u32_e32 v0, vcc, s22, v0
	v_addc_co_u32_e32 v1, vcc, v2, v1, vcc
	global_store_dword v[0:1], v8, off
.LBB0_56:                               ;   in Loop: Header=BB0_10 Depth=3
	s_or_b64 exec, exec, s[8:9]
.LBB0_57:                               ;   in Loop: Header=BB0_10 Depth=3
	s_or_saveexec_b64 s[82:83], s[82:83]
	v_add_u32_e32 v19, s17, v17
	v_ashrrev_i32_e32 v18, 31, v19
	v_sub_u32_e32 v20, 0, v19
	s_xor_b64 exec, exec, s[82:83]
	s_cbranch_execz .LBB0_72
; %bb.58:                               ;   in Loop: Header=BB0_10 Depth=3
	v_max_i32_e32 v0, v19, v20
	v_mul_hi_u32 v1, v0, s40
	v_mul_lo_u32 v1, v1, s38
	v_sub_u32_e32 v0, v0, v1
	v_subrev_u32_e32 v1, s38, v0
	v_cmp_le_u32_e32 vcc, s38, v0
	v_cndmask_b32_e32 v0, v0, v1, vcc
	v_subrev_u32_e32 v1, s38, v0
	v_cmp_le_u32_e32 vcc, s38, v0
	v_cndmask_b32_e32 v0, v0, v1, vcc
	v_xor_b32_e32 v0, v0, v18
	v_sub_u32_e32 v0, v0, v18
	v_add_u32_e32 v2, v16, v0
	s_andn2_b64 vcc, exec, s[58:59]
	v_ashrrev_i32_e32 v3, 31, v2
	s_cbranch_vccnz .LBB0_60
; %bb.59:                               ;   in Loop: Header=BB0_10 Depth=3
	v_mov_b32_e32 v1, s95
	v_add_co_u32_e32 v0, vcc, s94, v2
	v_addc_co_u32_e32 v1, vcc, v1, v3, vcc
	global_store_byte v[0:1], v12, off
.LBB0_60:                               ;   in Loop: Header=BB0_10 Depth=3
	v_mov_b32_e32 v1, s21
	v_add_co_u32_e32 v0, vcc, s20, v2
	v_addc_co_u32_e32 v1, vcc, v1, v3, vcc
	global_load_ubyte v21, v[0:1], off
	s_getpc_b64 s[2:3]
	s_add_u32 s2, s2, _ZL3C_p@gotpcrel32@lo+4
	s_addc_u32 s3, s3, _ZL3C_p@gotpcrel32@hi+12
	s_load_dwordx2 s[2:3], s[2:3], 0x0
	s_waitcnt lgkmcnt(0)
	v_mov_b32_e32 v23, s3
	s_waitcnt vmcnt(0)
	v_bfe_i32 v22, v21, 0, 8
	v_ashrrev_i32_e32 v24, 31, v22
	v_add_co_u32_e32 v22, vcc, s2, v22
	v_addc_co_u32_e32 v23, vcc, v23, v24, vcc
	global_load_sbyte v22, v[22:23], off
	s_nop 0
	global_load_sbyte v23, v7, s[60:61]
	s_waitcnt vmcnt(0)
	v_cmp_ge_i16_e32 vcc, v22, v23
	s_and_saveexec_b64 s[2:3], vcc
	s_xor_b64 s[8:9], exec, s[2:3]
	s_cbranch_execz .LBB0_68
; %bb.61:                               ;   in Loop: Header=BB0_10 Depth=3
	s_andn2_b64 vcc, exec, s[62:63]
	v_cmp_ne_u16_sdwa s[86:87], v21, v8 src0_sel:BYTE_0 src1_sel:DWORD
	s_cbranch_vccnz .LBB0_63
; %bb.62:                               ;   in Loop: Header=BB0_10 Depth=3
	v_add_u16_e32 v2, -9, v21
	v_cmp_gt_u16_sdwa s[2:3], v2, s41 src0_sel:BYTE_0 src1_sel:DWORD
	s_or_b64 s[2:3], s[88:89], s[2:3]
	s_and_b64 s[2:3], s[86:87], s[2:3]
	s_and_b64 s[2:3], s[2:3], exec
	s_cbranch_execz .LBB0_64
	s_branch .LBB0_65
.LBB0_63:                               ;   in Loop: Header=BB0_10 Depth=3
	s_mov_b64 s[2:3], 0
.LBB0_64:                               ;   in Loop: Header=BB0_10 Depth=3
	s_andn2_b64 s[2:3], s[2:3], exec
	s_and_b64 s[86:87], s[86:87], exec
	s_or_b64 s[2:3], s[2:3], s[86:87]
.LBB0_65:                               ;   in Loop: Header=BB0_10 Depth=3
	s_and_saveexec_b64 s[86:87], s[2:3]
	s_cbranch_execz .LBB0_67
; %bb.66:                               ;   in Loop: Header=BB0_10 Depth=3
	global_store_byte v[0:1], v10, off
.LBB0_67:                               ;   in Loop: Header=BB0_10 Depth=3
	s_or_b64 exec, exec, s[86:87]
                                        ; implicit-def: $vgpr0_vgpr1
                                        ; implicit-def: $vgpr2_vgpr3
.LBB0_68:                               ;   in Loop: Header=BB0_10 Depth=3
	s_andn2_saveexec_b64 s[8:9], s[8:9]
	s_cbranch_execz .LBB0_71
; %bb.69:                               ;   in Loop: Header=BB0_10 Depth=3
	v_mov_b32_e32 v21, s14
	s_andn2_b64 vcc, exec, s[64:65]
	global_store_byte v[0:1], v21, off
	s_cbranch_vccnz .LBB0_71
; %bb.70:                               ;   in Loop: Header=BB0_10 Depth=3
	v_lshlrev_b64 v[0:1], 2, v[2:3]
	v_mov_b32_e32 v2, s23
	v_add_co_u32_e32 v0, vcc, s22, v0
	v_addc_co_u32_e32 v1, vcc, v2, v1, vcc
	global_store_dword v[0:1], v8, off
.LBB0_71:                               ;   in Loop: Header=BB0_10 Depth=3
	s_or_b64 exec, exec, s[8:9]
.LBB0_72:                               ;   in Loop: Header=BB0_10 Depth=3
	s_or_b64 exec, exec, s[82:83]
	s_and_b64 vcc, exec, s[6:7]
	s_cbranch_vccz .LBB0_79
; %bb.73:                               ;   in Loop: Header=BB0_10 Depth=3
	s_andn2_b64 vcc, exec, s[24:25]
	s_cbranch_vccnz .LBB0_89
; %bb.74:                               ;   in Loop: Header=BB0_10 Depth=3
	v_max_i32_e32 v0, v19, v20
	v_mul_hi_u32 v1, v0, s40
	v_mul_lo_u32 v1, v1, s38
	v_sub_u32_e32 v0, v0, v1
	v_subrev_u32_e32 v1, s38, v0
	v_cmp_le_u32_e32 vcc, s38, v0
	v_cndmask_b32_e32 v0, v0, v1, vcc
	v_subrev_u32_e32 v1, s38, v0
	v_cmp_le_u32_e32 vcc, s38, v0
	v_cndmask_b32_e32 v0, v0, v1, vcc
	v_xor_b32_e32 v0, v0, v18
	v_sub_u32_e32 v0, v0, v18
	v_add_u32_e32 v2, v16, v0
	s_andn2_b64 vcc, exec, s[66:67]
	v_ashrrev_i32_e32 v3, 31, v2
	s_cbranch_vccnz .LBB0_76
; %bb.75:                               ;   in Loop: Header=BB0_10 Depth=3
	v_mov_b32_e32 v1, s95
	v_add_co_u32_e32 v0, vcc, s94, v2
	v_addc_co_u32_e32 v1, vcc, v1, v3, vcc
	global_store_byte v[0:1], v13, off
.LBB0_76:                               ;   in Loop: Header=BB0_10 Depth=3
	v_mov_b32_e32 v1, s21
	v_add_co_u32_e32 v0, vcc, s20, v2
	v_addc_co_u32_e32 v1, vcc, v1, v3, vcc
	global_load_ubyte v21, v[0:1], off
	s_getpc_b64 s[2:3]
	s_add_u32 s2, s2, _ZL3C_p@gotpcrel32@lo+4
	s_addc_u32 s3, s3, _ZL3C_p@gotpcrel32@hi+12
	s_load_dwordx2 s[2:3], s[2:3], 0x0
	s_waitcnt lgkmcnt(0)
	v_mov_b32_e32 v23, s3
	s_waitcnt vmcnt(0)
	v_bfe_i32 v22, v21, 0, 8
	v_ashrrev_i32_e32 v24, 31, v22
	v_add_co_u32_e32 v22, vcc, s2, v22
	v_addc_co_u32_e32 v23, vcc, v23, v24, vcc
	global_load_sbyte v22, v[22:23], off
	s_nop 0
	global_load_sbyte v23, v7, s[68:69]
	s_waitcnt vmcnt(0)
	v_cmp_ge_i16_e32 vcc, v22, v23
	s_and_saveexec_b64 s[2:3], vcc
	s_xor_b64 s[8:9], exec, s[2:3]
	s_cbranch_execz .LBB0_85
; %bb.77:                               ;   in Loop: Header=BB0_10 Depth=3
	s_andn2_b64 vcc, exec, s[70:71]
	v_cmp_ne_u16_sdwa s[82:83], v21, v8 src0_sel:BYTE_0 src1_sel:DWORD
	s_cbranch_vccnz .LBB0_80
; %bb.78:                               ;   in Loop: Header=BB0_10 Depth=3
	v_add_u16_e32 v2, -9, v21
	v_readlane_b32 s86, v25, 23
	v_cmp_gt_u16_sdwa s[2:3], v2, s41 src0_sel:BYTE_0 src1_sel:DWORD
	v_readlane_b32 s87, v25, 24
	s_or_b64 s[2:3], s[86:87], s[2:3]
	s_and_b64 s[2:3], s[82:83], s[2:3]
	s_and_b64 s[2:3], s[2:3], exec
	s_cbranch_execz .LBB0_81
	s_branch .LBB0_82
.LBB0_79:                               ;   in Loop: Header=BB0_10 Depth=3
	s_branch .LBB0_90
.LBB0_80:                               ;   in Loop: Header=BB0_10 Depth=3
	s_mov_b64 s[2:3], 0
.LBB0_81:                               ;   in Loop: Header=BB0_10 Depth=3
	s_andn2_b64 s[2:3], s[2:3], exec
	s_and_b64 s[82:83], s[82:83], exec
	s_or_b64 s[2:3], s[2:3], s[82:83]
.LBB0_82:                               ;   in Loop: Header=BB0_10 Depth=3
	s_and_saveexec_b64 s[82:83], s[2:3]
	s_cbranch_execz .LBB0_84
; %bb.83:                               ;   in Loop: Header=BB0_10 Depth=3
	global_store_byte v[0:1], v10, off
.LBB0_84:                               ;   in Loop: Header=BB0_10 Depth=3
	s_or_b64 exec, exec, s[82:83]
                                        ; implicit-def: $vgpr0_vgpr1
                                        ; implicit-def: $vgpr2_vgpr3
.LBB0_85:                               ;   in Loop: Header=BB0_10 Depth=3
	s_andn2_saveexec_b64 s[8:9], s[8:9]
	s_cbranch_execz .LBB0_88
; %bb.86:                               ;   in Loop: Header=BB0_10 Depth=3
	v_mov_b32_e32 v21, s35
	s_andn2_b64 vcc, exec, s[72:73]
	global_store_byte v[0:1], v21, off
	s_cbranch_vccnz .LBB0_88
; %bb.87:                               ;   in Loop: Header=BB0_10 Depth=3
	v_lshlrev_b64 v[0:1], 2, v[2:3]
	v_mov_b32_e32 v2, s23
	v_add_co_u32_e32 v0, vcc, s22, v0
	v_addc_co_u32_e32 v1, vcc, v2, v1, vcc
	global_store_dword v[0:1], v8, off
.LBB0_88:                               ;   in Loop: Header=BB0_10 Depth=3
	s_or_b64 exec, exec, s[8:9]
.LBB0_89:                               ;   in Loop: Header=BB0_10 Depth=3
	s_cbranch_execnz .LBB0_9
.LBB0_90:                               ;   in Loop: Header=BB0_10 Depth=3
	v_max_i32_e32 v0, v19, v20
	v_mul_hi_u32 v1, v0, s40
	v_mul_lo_u32 v1, v1, s38
	v_sub_u32_e32 v0, v0, v1
	v_subrev_u32_e32 v1, s38, v0
	v_cmp_le_u32_e32 vcc, s38, v0
	v_cndmask_b32_e32 v0, v0, v1, vcc
	v_subrev_u32_e32 v1, s38, v0
	v_cmp_le_u32_e32 vcc, s38, v0
	v_cndmask_b32_e32 v0, v0, v1, vcc
	v_xor_b32_e32 v0, v0, v18
	v_sub_u32_e32 v0, v0, v18
	v_add_u32_e32 v2, v16, v0
	s_andn2_b64 vcc, exec, s[74:75]
	v_ashrrev_i32_e32 v3, 31, v2
	s_cbranch_vccnz .LBB0_92
; %bb.91:                               ;   in Loop: Header=BB0_10 Depth=3
	v_mov_b32_e32 v1, s95
	v_add_co_u32_e32 v0, vcc, s94, v2
	v_addc_co_u32_e32 v1, vcc, v1, v3, vcc
	global_store_byte v[0:1], v8, off
.LBB0_92:                               ;   in Loop: Header=BB0_10 Depth=3
	v_mov_b32_e32 v1, s21
	v_add_co_u32_e32 v0, vcc, s20, v2
	v_addc_co_u32_e32 v1, vcc, v1, v3, vcc
	global_load_ubyte v18, v[0:1], off
	s_getpc_b64 s[2:3]
	s_add_u32 s2, s2, _ZL3C_p@gotpcrel32@lo+4
	s_addc_u32 s3, s3, _ZL3C_p@gotpcrel32@hi+12
	s_load_dwordx2 s[2:3], s[2:3], 0x0
	s_waitcnt lgkmcnt(0)
	v_mov_b32_e32 v19, s3
	s_waitcnt vmcnt(0)
	v_bfe_i32 v20, v18, 0, 8
	v_ashrrev_i32_e32 v21, 31, v20
	v_add_co_u32_e32 v20, vcc, s2, v20
	v_addc_co_u32_e32 v21, vcc, v19, v21, vcc
	global_load_sbyte v19, v[20:21], off
	s_nop 0
	global_load_sbyte v20, v7, s[76:77]
	s_waitcnt vmcnt(0)
	v_cmp_ge_i16_e32 vcc, v19, v20
	s_and_saveexec_b64 s[2:3], vcc
	s_xor_b64 s[8:9], exec, s[2:3]
	s_cbranch_execz .LBB0_100
; %bb.93:                               ;   in Loop: Header=BB0_10 Depth=3
	s_andn2_b64 vcc, exec, s[78:79]
	v_cmp_ne_u16_sdwa s[82:83], v18, v8 src0_sel:BYTE_0 src1_sel:DWORD
	s_cbranch_vccnz .LBB0_95
; %bb.94:                               ;   in Loop: Header=BB0_10 Depth=3
	v_add_u16_e32 v2, -9, v18
	v_cmp_gt_u16_sdwa s[2:3], v2, s41 src0_sel:BYTE_0 src1_sel:DWORD
	s_or_b64 s[2:3], s[92:93], s[2:3]
	s_and_b64 s[2:3], s[82:83], s[2:3]
	s_and_b64 s[2:3], s[2:3], exec
	s_cbranch_execz .LBB0_96
	s_branch .LBB0_97
.LBB0_95:                               ;   in Loop: Header=BB0_10 Depth=3
	s_mov_b64 s[2:3], 0
.LBB0_96:                               ;   in Loop: Header=BB0_10 Depth=3
	s_andn2_b64 s[2:3], s[2:3], exec
	s_and_b64 s[82:83], s[82:83], exec
	s_or_b64 s[2:3], s[2:3], s[82:83]
.LBB0_97:                               ;   in Loop: Header=BB0_10 Depth=3
	s_and_saveexec_b64 s[82:83], s[2:3]
	s_cbranch_execz .LBB0_99
; %bb.98:                               ;   in Loop: Header=BB0_10 Depth=3
	global_store_byte v[0:1], v10, off
.LBB0_99:                               ;   in Loop: Header=BB0_10 Depth=3
	s_or_b64 exec, exec, s[82:83]
                                        ; implicit-def: $vgpr0_vgpr1
                                        ; implicit-def: $vgpr2_vgpr3
.LBB0_100:                              ;   in Loop: Header=BB0_10 Depth=3
	s_andn2_saveexec_b64 s[8:9], s[8:9]
	s_cbranch_execz .LBB0_8
; %bb.101:                              ;   in Loop: Header=BB0_10 Depth=3
	v_mov_b32_e32 v18, s34
	s_andn2_b64 vcc, exec, s[80:81]
	global_store_byte v[0:1], v18, off
	s_cbranch_vccnz .LBB0_8
; %bb.102:                              ;   in Loop: Header=BB0_10 Depth=3
	v_lshlrev_b64 v[0:1], 2, v[2:3]
	v_mov_b32_e32 v2, s23
	v_add_co_u32_e32 v0, vcc, s22, v0
	v_addc_co_u32_e32 v1, vcc, v2, v1, vcc
	global_store_dword v[0:1], v8, off
	s_branch .LBB0_8
.LBB0_103:
	s_endpgm
	.section	.rodata,"a",@progbits
	.p2align	6, 0x0
	.amdhsa_kernel _Z9make_flagPcPiS_5BoxCU10outer_walliiii
		.amdhsa_group_segment_fixed_size 0
		.amdhsa_private_segment_fixed_size 0
		.amdhsa_kernarg_size 344
		.amdhsa_user_sgpr_count 6
		.amdhsa_user_sgpr_private_segment_buffer 1
		.amdhsa_user_sgpr_dispatch_ptr 0
		.amdhsa_user_sgpr_queue_ptr 0
		.amdhsa_user_sgpr_kernarg_segment_ptr 1
		.amdhsa_user_sgpr_dispatch_id 0
		.amdhsa_user_sgpr_flat_scratch_init 0
		.amdhsa_user_sgpr_kernarg_preload_length 0
		.amdhsa_user_sgpr_kernarg_preload_offset 0
		.amdhsa_user_sgpr_private_segment_size 0
		.amdhsa_uses_dynamic_stack 0
		.amdhsa_system_sgpr_private_segment_wavefront_offset 0
		.amdhsa_system_sgpr_workgroup_id_x 1
		.amdhsa_system_sgpr_workgroup_id_y 1
		.amdhsa_system_sgpr_workgroup_id_z 1
		.amdhsa_system_sgpr_workgroup_info 0
		.amdhsa_system_vgpr_workitem_id 1
		.amdhsa_next_free_vgpr 26
		.amdhsa_next_free_sgpr 96
		.amdhsa_accum_offset 28
		.amdhsa_reserve_vcc 1
		.amdhsa_reserve_flat_scratch 0
		.amdhsa_float_round_mode_32 0
		.amdhsa_float_round_mode_16_64 0
		.amdhsa_float_denorm_mode_32 3
		.amdhsa_float_denorm_mode_16_64 3
		.amdhsa_dx10_clamp 1
		.amdhsa_ieee_mode 1
		.amdhsa_fp16_overflow 0
		.amdhsa_tg_split 0
		.amdhsa_exception_fp_ieee_invalid_op 0
		.amdhsa_exception_fp_denorm_src 0
		.amdhsa_exception_fp_ieee_div_zero 0
		.amdhsa_exception_fp_ieee_overflow 0
		.amdhsa_exception_fp_ieee_underflow 0
		.amdhsa_exception_fp_ieee_inexact 0
		.amdhsa_exception_int_div_zero 0
	.end_amdhsa_kernel
	.text
.Lfunc_end0:
	.size	_Z9make_flagPcPiS_5BoxCU10outer_walliiii, .Lfunc_end0-_Z9make_flagPcPiS_5BoxCU10outer_walliiii
                                        ; -- End function
	.section	.AMDGPU.csdata,"",@progbits
; Kernel info:
; codeLenInByte = 3836
; NumSgprs: 100
; NumVgprs: 26
; NumAgprs: 0
; TotalNumVgprs: 26
; ScratchSize: 0
; MemoryBound: 0
; FloatMode: 240
; IeeeMode: 1
; LDSByteSize: 0 bytes/workgroup (compile time only)
; SGPRBlocks: 12
; VGPRBlocks: 3
; NumSGPRsForWavesPerEU: 100
; NumVGPRsForWavesPerEU: 26
; AccumOffset: 28
; Occupancy: 8
; WaveLimiterHint : 0
; COMPUTE_PGM_RSRC2:SCRATCH_EN: 0
; COMPUTE_PGM_RSRC2:USER_SGPR: 6
; COMPUTE_PGM_RSRC2:TRAP_HANDLER: 0
; COMPUTE_PGM_RSRC2:TGID_X_EN: 1
; COMPUTE_PGM_RSRC2:TGID_Y_EN: 1
; COMPUTE_PGM_RSRC2:TGID_Z_EN: 1
; COMPUTE_PGM_RSRC2:TIDIG_COMP_CNT: 1
; COMPUTE_PGM_RSRC3_GFX90A:ACCUM_OFFSET: 6
; COMPUTE_PGM_RSRC3_GFX90A:TG_SPLIT: 0
	.section	.text._Z9find_wallILi19EEvPcS0_Pi5BoxCUi,"axG",@progbits,_Z9find_wallILi19EEvPcS0_Pi5BoxCUi,comdat
	.protected	_Z9find_wallILi19EEvPcS0_Pi5BoxCUi ; -- Begin function _Z9find_wallILi19EEvPcS0_Pi5BoxCUi
	.globl	_Z9find_wallILi19EEvPcS0_Pi5BoxCUi
	.p2align	8
	.type	_Z9find_wallILi19EEvPcS0_Pi5BoxCUi,@function
_Z9find_wallILi19EEvPcS0_Pi5BoxCUi:     ; @_Z9find_wallILi19EEvPcS0_Pi5BoxCUi
; %bb.0:
	s_load_dword s9, s[4:5], 0x2c
	s_add_u32 s0, s4, 24
	s_addc_u32 s1, s5, 0
	s_waitcnt lgkmcnt(0)
	s_cmp_ge_i32 s8, s9
	s_cbranch_scc1 .LBB1_18
; %bb.1:
	s_load_dwordx4 s[12:15], s[4:5], 0x0
	s_load_dwordx2 s[10:11], s[4:5], 0x10
	s_load_dword s33, s[0:1], 0x4
	s_load_dword s36, s[0:1], 0xc
	s_load_dwordx2 s[16:17], s[4:5], 0x3c
	s_load_dword s2, s[4:5], 0x44
	s_add_u32 s4, s4, 56
	s_addc_u32 s5, s5, 0
	s_waitcnt lgkmcnt(0)
	s_abs_i32 s37, s36
	v_cvt_f32_u32_e32 v1, s37
	s_lshr_b32 s0, s2, 16
	s_mul_i32 s7, s7, s0
	v_bfe_u32 v2, v0, 10, 10
	v_rcp_iflag_f32_e32 v1, v1
	v_add_u32_e32 v10, s7, v2
	s_abs_i32 s7, s9
	v_and_b32_e32 v11, 0x3ff, v0
	v_mul_f32_e32 v0, 0x4f7ffffe, v1
	v_cvt_f32_u32_e32 v1, s7
	v_cvt_u32_f32_e32 v0, v0
	s_abs_i32 s38, s33
	v_cvt_f32_u32_e32 v3, s38
	v_rcp_iflag_f32_e32 v1, v1
	s_mul_i32 s16, s16, s0
	s_sub_i32 s0, 0, s37
	v_mul_lo_u32 v2, s0, v0
	v_mul_hi_u32 v2, v0, v2
	v_mul_f32_e32 v1, 0x4f7ffffe, v1
	v_add_u32_e32 v12, v0, v2
	v_rcp_iflag_f32_e32 v0, v3
	v_cvt_u32_f32_e32 v1, v1
	s_sub_i32 s0, 0, s7
	v_cmp_gt_i32_e32 vcc, s36, v10
	v_mul_f32_e32 v0, 0x4f7ffffe, v0
	v_readfirstlane_b32 s1, v1
	v_cvt_u32_f32_e32 v0, v0
	s_mul_i32 s0, s0, s1
	s_mul_hi_u32 s0, s1, s0
	s_add_i32 s39, s1, s0
	s_sub_i32 s0, 0, s38
	v_mul_lo_u32 v1, s0, v0
	v_mul_hi_u32 v1, v0, v1
	v_add_u32_e32 v13, v0, v1
	v_mov_b32_e32 v14, 0
	v_mov_b32_e32 v15, 4
	;; [unrolled: 1-line block ×3, first 2 shown]
	s_branch .LBB1_3
.LBB1_2:                                ;   in Loop: Header=BB1_3 Depth=1
	s_or_b64 exec, exec, s[18:19]
	s_add_i32 s8, s17, s8
	s_cmp_ge_i32 s8, s9
	s_cbranch_scc1 .LBB1_18
.LBB1_3:                                ; =>This Loop Header: Depth=1
                                        ;     Child Loop BB1_6 Depth 2
                                        ;       Child Loop BB1_9 Depth 3
                                        ;         Child Loop BB1_13 Depth 4
	s_and_saveexec_b64 s[18:19], vcc
	s_cbranch_execz .LBB1_2
; %bb.4:                                ;   in Loop: Header=BB1_3 Depth=1
	s_add_i32 s40, s8, s9
	s_load_dword s0, s[4:5], 0xc
	s_load_dword s41, s[4:5], 0x0
	s_abs_i32 s3, s40
	s_mul_hi_u32 s20, s3, s39
	s_mul_i32 s20, s20, s7
	s_sub_i32 s3, s3, s20
	s_ashr_i32 s2, s40, 31
	s_waitcnt lgkmcnt(0)
	s_and_b32 s0, s0, 0xffff
	s_sub_i32 s20, s3, s7
	s_cmp_ge_u32 s3, s7
	s_cselect_b32 s3, s20, s3
	s_sub_i32 s20, s3, s7
	s_cmp_ge_u32 s3, s7
	s_cselect_b32 s3, s20, s3
	s_mul_i32 s1, s6, s0
	s_xor_b32 s3, s3, s2
	v_add_u32_e32 v17, s1, v11
	s_sub_i32 s42, s3, s2
	s_mul_i32 s41, s41, s0
	v_cmp_gt_i32_e64 s[0:1], s33, v17
	s_mul_i32 s42, s42, s36
	s_mov_b64 s[20:21], 0
	v_mov_b32_e32 v18, v10
	s_branch .LBB1_6
.LBB1_5:                                ;   in Loop: Header=BB1_6 Depth=2
	s_or_b64 exec, exec, s[22:23]
	v_add_u32_e32 v18, s16, v18
	v_cmp_le_i32_e64 s[2:3], s36, v18
	s_or_b64 s[20:21], s[2:3], s[20:21]
	s_andn2_b64 exec, exec, s[20:21]
	s_cbranch_execz .LBB1_2
.LBB1_6:                                ;   Parent Loop BB1_3 Depth=1
                                        ; =>  This Loop Header: Depth=2
                                        ;       Child Loop BB1_9 Depth 3
                                        ;         Child Loop BB1_13 Depth 4
	s_and_saveexec_b64 s[22:23], s[0:1]
	s_cbranch_execz .LBB1_5
; %bb.7:                                ;   in Loop: Header=BB1_6 Depth=2
	v_add_u32_e32 v19, s36, v18
	v_sub_u32_e32 v1, 0, v19
	v_max_i32_e32 v1, v19, v1
	v_mul_hi_u32 v2, v1, v12
	v_mul_lo_u32 v2, v2, s37
	v_sub_u32_e32 v1, v1, v2
	v_subrev_u32_e32 v2, s37, v1
	v_cmp_le_u32_e64 s[2:3], s37, v1
	v_cndmask_b32_e64 v1, v1, v2, s[2:3]
	v_subrev_u32_e32 v2, s37, v1
	v_cmp_le_u32_e64 s[2:3], s37, v1
	v_ashrrev_i32_e32 v0, 31, v19
	v_cndmask_b32_e64 v1, v1, v2, s[2:3]
	v_xor_b32_e32 v1, v1, v0
	v_sub_u32_e32 v0, v1, v0
	v_add_u32_e32 v0, s42, v0
	v_mul_lo_u32 v20, v0, s33
	s_mov_b64 s[24:25], 0
	v_mov_b32_e32 v21, v17
	s_branch .LBB1_9
.LBB1_8:                                ;   in Loop: Header=BB1_9 Depth=3
	s_or_b64 exec, exec, s[26:27]
	v_add_u32_e32 v21, s41, v21
	v_cmp_le_i32_e64 s[2:3], s33, v21
	s_or_b64 s[24:25], s[2:3], s[24:25]
	s_andn2_b64 exec, exec, s[24:25]
	s_cbranch_execz .LBB1_5
.LBB1_9:                                ;   Parent Loop BB1_3 Depth=1
                                        ;     Parent Loop BB1_6 Depth=2
                                        ; =>    This Loop Header: Depth=3
                                        ;         Child Loop BB1_13 Depth 4
	v_add_u32_e32 v22, s33, v21
	v_sub_u32_e32 v1, 0, v22
	v_max_i32_e32 v1, v22, v1
	v_mul_hi_u32 v2, v1, v13
	v_mul_lo_u32 v2, v2, s38
	v_sub_u32_e32 v1, v1, v2
	v_subrev_u32_e32 v2, s38, v1
	v_cmp_le_u32_e64 s[2:3], s38, v1
	v_cndmask_b32_e64 v1, v1, v2, s[2:3]
	v_subrev_u32_e32 v2, s38, v1
	v_cmp_le_u32_e64 s[2:3], s38, v1
	v_ashrrev_i32_e32 v0, 31, v22
	v_cndmask_b32_e64 v1, v1, v2, s[2:3]
	v_xor_b32_e32 v1, v1, v0
	v_sub_u32_e32 v0, v1, v0
	v_add_u32_e32 v4, v20, v0
	v_ashrrev_i32_e32 v5, 31, v4
	v_mov_b32_e32 v1, s13
	v_add_co_u32_e64 v0, s[2:3], s12, v4
	v_addc_co_u32_e64 v1, s[2:3], v1, v5, s[2:3]
	global_load_sbyte v23, v[0:1], off
	s_waitcnt vmcnt(0)
	v_cmp_gt_i16_e64 s[2:3], 4, v23
	s_and_saveexec_b64 s[26:27], s[2:3]
	s_cbranch_execz .LBB1_8
; %bb.10:                               ;   in Loop: Header=BB1_9 Depth=3
	v_mov_b32_e32 v3, s15
	v_add_co_u32_e64 v2, s[2:3], s14, v4
	v_addc_co_u32_e64 v3, s[2:3], v3, v5, s[2:3]
	v_lshlrev_b64 v[4:5], 2, v[4:5]
	v_mov_b32_e32 v6, s11
	v_add_co_u32_e64 v4, s[2:3], s10, v4
	v_addc_co_u32_e64 v5, s[2:3], v6, v5, s[2:3]
	s_mov_b64 s[28:29], 0
	s_mov_b64 s[30:31], 0
	s_branch .LBB1_13
.LBB1_11:                               ;   in Loop: Header=BB1_13 Depth=4
	s_or_b64 exec, exec, s[34:35]
	global_load_dword v6, v[4:5], off
	v_mov_b32_e32 v7, 0xab
	s_cmp_lt_u32 s30, 30
	v_mul_lo_u16_sdwa v7, s30, v7 dst_sel:DWORD dst_unused:UNUSED_PAD src0_sel:BYTE_0 src1_sel:DWORD
	s_cselect_b32 s34, 8, -10
	v_lshrrev_b16_e32 v7, 9, v7
	v_add_u32_e32 v7, s34, v7
	s_waitcnt vmcnt(0)
	v_lshl_or_b32 v6, 2, v7, v6
	global_store_dword v[4:5], v6, off
	v_mov_b32_e32 v6, s30
.LBB1_12:                               ;   in Loop: Header=BB1_13 Depth=4
	s_or_b64 exec, exec, s[2:3]
	v_cmp_lt_u32_e64 s[2:3], 53, v6
	s_or_b64 s[28:29], s[2:3], s[28:29]
	s_andn2_b64 exec, exec, s[28:29]
	s_cbranch_execz .LBB1_8
.LBB1_13:                               ;   Parent Loop BB1_3 Depth=1
                                        ;     Parent Loop BB1_6 Depth=2
                                        ;       Parent Loop BB1_9 Depth=3
                                        ; =>      This Inner Loop Header: Depth=4
	s_mov_b64 s[2:3], s[30:31]
	s_add_u32 s30, s2, 3
	s_addc_u32 s31, s3, 0
	s_getpc_b64 s[34:35]
	s_add_u32 s34, s34, C_dirs@rel32@lo+7
	s_addc_u32 s35, s35, C_dirs@rel32@hi+15
	s_add_u32 s34, s2, s34
	s_addc_u32 s35, s3, s35
	s_getpc_b64 s[44:45]
	s_add_u32 s44, s44, C_dirs@rel32@lo+9
	s_addc_u32 s45, s45, C_dirs@rel32@hi+17
	s_add_u32 s2, s2, s44
	global_load_ushort v6, v14, s[34:35]
	s_addc_u32 s3, s3, s45
	global_load_sbyte v7, v14, s[2:3]
	v_mov_b32_e32 v24, s13
	s_waitcnt vmcnt(1)
	v_add_u32_sdwa v8, v22, sext(v6) dst_sel:DWORD dst_unused:UNUSED_PAD src0_sel:DWORD src1_sel:BYTE_0
	v_add_u32_sdwa v6, v19, sext(v6) dst_sel:DWORD dst_unused:UNUSED_PAD src0_sel:DWORD src1_sel:BYTE_1
	s_waitcnt vmcnt(0)
	v_readfirstlane_b32 s2, v7
	v_sub_u32_e32 v9, 0, v8
	v_ashrrev_i32_e32 v7, 31, v8
	v_sub_u32_e32 v26, 0, v6
	s_add_i32 s2, s40, s2
	v_max_i32_e32 v8, v8, v9
	v_ashrrev_i32_e32 v25, 31, v6
	v_max_i32_e32 v6, v6, v26
	s_ashr_i32 s34, s2, 31
	s_abs_i32 s2, s2
	v_mul_hi_u32 v9, v8, v13
	v_mul_hi_u32 v26, v6, v12
	s_mul_hi_u32 s3, s2, s39
	v_mul_lo_u32 v9, v9, s38
	v_mul_lo_u32 v26, v26, s37
	s_mul_i32 s3, s3, s7
	v_sub_u32_e32 v8, v8, v9
	v_sub_u32_e32 v6, v6, v26
	s_sub_i32 s35, s2, s3
	v_subrev_u32_e32 v9, s38, v8
	v_cmp_le_u32_e64 s[2:3], s38, v8
	v_subrev_u32_e32 v26, s37, v6
	s_sub_i32 s43, s35, s7
	v_cndmask_b32_e64 v8, v8, v9, s[2:3]
	v_cmp_le_u32_e64 s[2:3], s37, v6
	v_cndmask_b32_e64 v6, v6, v26, s[2:3]
	s_cmp_ge_u32 s35, s7
	v_subrev_u32_e32 v9, s38, v8
	v_cmp_le_u32_e64 s[2:3], s38, v8
	v_subrev_u32_e32 v26, s37, v6
	s_cselect_b32 s35, s43, s35
	v_cndmask_b32_e64 v8, v8, v9, s[2:3]
	v_cmp_le_u32_e64 s[2:3], s37, v6
	v_cndmask_b32_e64 v6, v6, v26, s[2:3]
	s_sub_i32 s2, s35, s7
	s_cmp_ge_u32 s35, s7
	s_cselect_b32 s2, s2, s35
	s_xor_b32 s2, s2, s34
	v_xor_b32_e32 v8, v8, v7
	v_xor_b32_e32 v9, v6, v25
	s_sub_i32 s2, s2, s34
	v_sub_u32_e32 v6, v8, v7
	v_sub_u32_e32 v7, v9, v25
	s_mul_i32 s2, s2, s36
	v_add_u32_e32 v7, s2, v7
	v_mad_u64_u32 v[8:9], s[2:3], v7, s33, v[6:7]
	v_ashrrev_i32_e32 v9, 31, v8
	v_add_co_u32_e64 v6, s[2:3], s12, v8
	v_addc_co_u32_e64 v7, s[2:3], v24, v9, s[2:3]
	global_load_ubyte v24, v[6:7], off
	s_waitcnt vmcnt(0)
	v_cmp_eq_u16_e64 s[2:3], 10, v24
	s_and_saveexec_b64 s[34:35], s[2:3]
	s_cbranch_execz .LBB1_15
; %bb.14:                               ;   in Loop: Header=BB1_13 Depth=4
	v_mov_b32_e32 v23, 2
	v_mov_b32_e32 v24, s15
	v_add_co_u32_e64 v8, s[2:3], s14, v8
	v_addc_co_u32_e64 v9, s[2:3], v24, v9, s[2:3]
	global_load_dword v25, v[4:5], off
	global_load_ubyte v26, v[8:9], off
	s_cmp_lt_u32 s30, 30
	global_store_byte v[0:1], v23, off
	global_load_ubyte v24, v[6:7], off
	v_mov_b32_e32 v6, 0xab
	v_mul_lo_u16_sdwa v6, s30, v6 dst_sel:DWORD dst_unused:UNUSED_PAD src0_sel:BYTE_0 src1_sel:DWORD
	s_cselect_b32 s2, 8, -10
	v_lshrrev_b16_e32 v6, 9, v6
	v_add_u32_e32 v6, s2, v6
	s_waitcnt vmcnt(3)
	v_lshl_or_b32 v6, 2, v6, v25
	s_waitcnt vmcnt(2)
	global_store_byte v[2:3], v26, off
	global_store_dword v[4:5], v6, off
.LBB1_15:                               ;   in Loop: Header=BB1_13 Depth=4
	s_or_b64 exec, exec, s[34:35]
	s_waitcnt vmcnt(2)
	v_cmp_ne_u16_sdwa s[2:3], v24, v15 src0_sel:BYTE_0 src1_sel:DWORD
	s_and_saveexec_b64 s[34:35], s[2:3]
	s_xor_b64 s[2:3], exec, s[34:35]
	s_or_saveexec_b64 s[2:3], s[2:3]
	v_mov_b32_e32 v6, s30
	s_xor_b64 exec, exec, s[2:3]
	s_cbranch_execz .LBB1_12
; %bb.16:                               ;   in Loop: Header=BB1_13 Depth=4
	v_cmp_ne_u16_sdwa s[44:45], v23, v16 src0_sel:BYTE_0 src1_sel:DWORD
	v_mov_b32_e32 v23, 2
	s_and_saveexec_b64 s[34:35], s[44:45]
	s_cbranch_execz .LBB1_11
; %bb.17:                               ;   in Loop: Header=BB1_13 Depth=4
	v_mov_b32_e32 v23, 3
	global_store_byte v[0:1], v23, off
	s_branch .LBB1_11
.LBB1_18:
	s_endpgm
	.section	.rodata,"a",@progbits
	.p2align	6, 0x0
	.amdhsa_kernel _Z9find_wallILi19EEvPcS0_Pi5BoxCUi
		.amdhsa_group_segment_fixed_size 0
		.amdhsa_private_segment_fixed_size 0
		.amdhsa_kernarg_size 312
		.amdhsa_user_sgpr_count 6
		.amdhsa_user_sgpr_private_segment_buffer 1
		.amdhsa_user_sgpr_dispatch_ptr 0
		.amdhsa_user_sgpr_queue_ptr 0
		.amdhsa_user_sgpr_kernarg_segment_ptr 1
		.amdhsa_user_sgpr_dispatch_id 0
		.amdhsa_user_sgpr_flat_scratch_init 0
		.amdhsa_user_sgpr_kernarg_preload_length 0
		.amdhsa_user_sgpr_kernarg_preload_offset 0
		.amdhsa_user_sgpr_private_segment_size 0
		.amdhsa_uses_dynamic_stack 0
		.amdhsa_system_sgpr_private_segment_wavefront_offset 0
		.amdhsa_system_sgpr_workgroup_id_x 1
		.amdhsa_system_sgpr_workgroup_id_y 1
		.amdhsa_system_sgpr_workgroup_id_z 1
		.amdhsa_system_sgpr_workgroup_info 0
		.amdhsa_system_vgpr_workitem_id 1
		.amdhsa_next_free_vgpr 27
		.amdhsa_next_free_sgpr 46
		.amdhsa_accum_offset 28
		.amdhsa_reserve_vcc 1
		.amdhsa_reserve_flat_scratch 0
		.amdhsa_float_round_mode_32 0
		.amdhsa_float_round_mode_16_64 0
		.amdhsa_float_denorm_mode_32 3
		.amdhsa_float_denorm_mode_16_64 3
		.amdhsa_dx10_clamp 1
		.amdhsa_ieee_mode 1
		.amdhsa_fp16_overflow 0
		.amdhsa_tg_split 0
		.amdhsa_exception_fp_ieee_invalid_op 0
		.amdhsa_exception_fp_denorm_src 0
		.amdhsa_exception_fp_ieee_div_zero 0
		.amdhsa_exception_fp_ieee_overflow 0
		.amdhsa_exception_fp_ieee_underflow 0
		.amdhsa_exception_fp_ieee_inexact 0
		.amdhsa_exception_int_div_zero 0
	.end_amdhsa_kernel
	.section	.text._Z9find_wallILi19EEvPcS0_Pi5BoxCUi,"axG",@progbits,_Z9find_wallILi19EEvPcS0_Pi5BoxCUi,comdat
.Lfunc_end1:
	.size	_Z9find_wallILi19EEvPcS0_Pi5BoxCUi, .Lfunc_end1-_Z9find_wallILi19EEvPcS0_Pi5BoxCUi
                                        ; -- End function
	.section	.AMDGPU.csdata,"",@progbits
; Kernel info:
; codeLenInByte = 1484
; NumSgprs: 50
; NumVgprs: 27
; NumAgprs: 0
; TotalNumVgprs: 27
; ScratchSize: 0
; MemoryBound: 0
; FloatMode: 240
; IeeeMode: 1
; LDSByteSize: 0 bytes/workgroup (compile time only)
; SGPRBlocks: 6
; VGPRBlocks: 3
; NumSGPRsForWavesPerEU: 50
; NumVGPRsForWavesPerEU: 27
; AccumOffset: 28
; Occupancy: 8
; WaveLimiterHint : 0
; COMPUTE_PGM_RSRC2:SCRATCH_EN: 0
; COMPUTE_PGM_RSRC2:USER_SGPR: 6
; COMPUTE_PGM_RSRC2:TRAP_HANDLER: 0
; COMPUTE_PGM_RSRC2:TGID_X_EN: 1
; COMPUTE_PGM_RSRC2:TGID_Y_EN: 1
; COMPUTE_PGM_RSRC2:TGID_Z_EN: 1
; COMPUTE_PGM_RSRC2:TIDIG_COMP_CNT: 1
; COMPUTE_PGM_RSRC3_GFX90A:ACCUM_OFFSET: 6
; COMPUTE_PGM_RSRC3_GFX90A:TG_SPLIT: 0
	.section	.text._Z15init_velocity_gIL12lattice_type19EEv8lbm_vars5BoxCUS2_dfffd,"axG",@progbits,_Z15init_velocity_gIL12lattice_type19EEv8lbm_vars5BoxCUS2_dfffd,comdat
	.protected	_Z15init_velocity_gIL12lattice_type19EEv8lbm_vars5BoxCUS2_dfffd ; -- Begin function _Z15init_velocity_gIL12lattice_type19EEv8lbm_vars5BoxCUS2_dfffd
	.globl	_Z15init_velocity_gIL12lattice_type19EEv8lbm_vars5BoxCUS2_dfffd
	.p2align	8
	.type	_Z15init_velocity_gIL12lattice_type19EEv8lbm_vars5BoxCUS2_dfffd,@function
_Z15init_velocity_gIL12lattice_type19EEv8lbm_vars5BoxCUS2_dfffd: ; @_Z15init_velocity_gIL12lattice_type19EEv8lbm_vars5BoxCUS2_dfffd
; %bb.0:
	s_load_dword s9, s[4:5], 0x8c
	s_add_u32 s0, s4, 0x78
	s_addc_u32 s1, s5, 0
	s_waitcnt lgkmcnt(0)
	s_cmp_ge_i32 s8, s9
	s_cbranch_scc1 .LBB2_9
; %bb.1:
	s_load_dwordx2 s[10:11], s[4:5], 0x28
	s_load_dwordx4 s[12:15], s[4:5], 0x48
	s_load_dwordx2 s[28:29], s[4:5], 0x58
	s_load_dword s33, s[0:1], 0x4
	s_load_dwordx4 s[16:19], s[4:5], 0x18
	s_load_dword s44, s[0:1], 0xc
	s_load_dwordx4 s[20:23], s[4:5], 0xb0
	s_load_dwordx2 s[2:3], s[4:5], 0xa0
	s_load_dwordx2 s[30:31], s[4:5], 0xc0
	;; [unrolled: 1-line block ×3, first 2 shown]
	s_waitcnt lgkmcnt(0)
	s_load_dword s23, s[4:5], 0xd4
	s_load_dwordx4 s[24:27], s[4:5], 0x90
	s_load_dword s37, s[4:5], 0x88
	s_load_dword s38, s[4:5], 0x80
	;; [unrolled: 1-line block ×3, first 2 shown]
	s_add_u32 s4, s4, 0xc8
	s_addc_u32 s5, s5, 0
	s_waitcnt lgkmcnt(0)
	s_lshr_b32 s42, s23, 16
	s_mul_i32 s7, s7, s42
	v_bfe_u32 v1, v0, 10, 10
	v_add_u32_e32 v38, s7, v1
	s_sub_i32 s7, s38, s26
	s_mov_b32 s38, 0
	v_and_b32_e32 v39, 0x3ff, v0
	s_mov_b32 s39, 0x40420000
	v_pk_mov_b32 v[0:1], s[30:31], s[30:31] op_sel:[0,1]
	v_div_scale_f64 v[0:1], s[40:41], s[38:39], s[38:39], v[0:1]
	v_mul_f32_e64 v4, s21, s21
	v_rcp_f64_e32 v[2:3], v[0:1]
	v_fmac_f32_e64 v4, s20, s20
	v_fmac_f32_e64 v4, s22, s22
	v_mul_f32_e32 v4, 0x40400000, v4
	v_cvt_f64_f32_e32 v[34:35], v4
	v_fma_f64 v[4:5], -v[0:1], v[2:3], 1.0
	v_fmac_f64_e32 v[2:3], v[2:3], v[4:5]
	v_fma_f64 v[4:5], -v[0:1], v[2:3], 1.0
	v_fmac_f64_e32 v[2:3], v[2:3], v[4:5]
	v_pk_mov_b32 v[4:5], s[38:39], s[38:39] op_sel:[0,1]
	v_div_scale_f64 v[4:5], vcc, s[30:31], v[4:5], s[30:31]
	v_mul_f64 v[6:7], v[4:5], v[2:3]
	v_fma_f64 v[0:1], -v[0:1], v[6:7], v[4:5]
	v_mov_b32_e32 v10, 0xc0400000
	s_nop 0
	v_div_fmas_f64 v[0:1], v[0:1], v[2:3], v[6:7]
	v_pk_mov_b32 v[2:3], s[30:31], s[30:31] op_sel:[0,1]
	v_mul_f32_e32 v4, s20, v10
	v_mul_f32_e32 v8, s21, v10
	;; [unrolled: 1-line block ×3, first 2 shown]
	v_div_fixup_f64 v[36:37], v[0:1], s[38:39], v[2:3]
	v_fma_f32 v2, s20, v10, 1.0
	v_mul_f32_e32 v4, v4, v4
	v_fma_f32 v6, s21, v10, 1.0
	v_mul_f32_e32 v8, v8, v8
	;; [unrolled: 2-line block ×3, first 2 shown]
	v_cvt_f64_f32_e32 v[2:3], v2
	v_cvt_f64_f32_e32 v[4:5], v4
	;; [unrolled: 1-line block ×6, first 2 shown]
	s_mov_b32 s38, 0
	v_fmac_f64_e32 v[2:3], 0.5, v[4:5]
	v_fmac_f64_e32 v[6:7], 0.5, v[8:9]
	;; [unrolled: 1-line block ×3, first 2 shown]
	s_mov_b32 s39, 0x40280000
	v_add_f64 v[40:41], v[36:37], v[36:37]
	v_fmac_f64_e32 v[2:3], -0.5, v[34:35]
	v_fmac_f64_e32 v[6:7], -0.5, v[34:35]
	;; [unrolled: 1-line block ×3, first 2 shown]
	v_mul_f64 v[12:13], v[36:37], s[38:39]
	v_fma_f64 v[0:1], v[34:35], -0.5, 1.0
	v_mul_f64 v[2:3], v[40:41], v[2:3]
	v_cvt_f64_f32_e32 v[4:5], s20
	v_mul_f64 v[6:7], v[40:41], v[6:7]
	v_cvt_f64_f32_e32 v[8:9], s21
	;; [unrolled: 2-line block ×3, first 2 shown]
	v_mov_b32_e32 v44, s21
	v_mul_f64 v[0:1], v[12:13], v[0:1]
	v_fma_f64 v[4:5], v[12:13], v[4:5], v[2:3]
	v_fma_f64 v[8:9], v[12:13], v[8:9], v[6:7]
	;; [unrolled: 1-line block ×3, first 2 shown]
	v_sub_f32_e64 v14, -s20, v44
	v_mul_f32_e32 v14, 0x40400000, v14
	v_cvt_f64_f32_e32 v[16:17], v14
	v_add_f64 v[14:15], v[16:17], 1.0
	v_mul_f64 v[18:19], v[16:17], v[16:17]
	v_mov_b32_e32 v28, s20
	v_fmac_f64_e32 v[14:15], 0.5, v[18:19]
	v_sub_f32_e32 v18, s21, v28
	v_mul_f32_e32 v18, 0x40400000, v18
	v_cvt_f64_f32_e32 v[20:21], v18
	v_add_f64 v[18:19], v[20:21], 1.0
	v_mul_f64 v[22:23], v[20:21], v[20:21]
	v_mov_b32_e32 v32, s22
	v_fmac_f64_e32 v[18:19], 0.5, v[22:23]
	v_sub_f32_e64 v22, -s20, v32
	v_mul_f32_e32 v22, 0x40400000, v22
	v_cvt_f64_f32_e32 v[24:25], v22
	v_add_f64 v[22:23], v[24:25], 1.0
	v_mul_f64 v[26:27], v[24:25], v[24:25]
	v_fmac_f64_e32 v[22:23], 0.5, v[26:27]
	v_sub_f32_e32 v26, s22, v28
	v_mul_f32_e32 v26, 0x40400000, v26
	v_cvt_f64_f32_e32 v[28:29], v26
	v_add_f64 v[26:27], v[28:29], 1.0
	v_mul_f64 v[30:31], v[28:29], v[28:29]
	v_fmac_f64_e32 v[26:27], 0.5, v[30:31]
	v_sub_f32_e64 v30, -s21, v32
	v_mul_f32_e32 v30, 0x40400000, v30
	v_cvt_f64_f32_e32 v[32:33], v30
	v_add_f64 v[30:31], v[32:33], 1.0
	v_mul_f64 v[42:43], v[32:33], v[32:33]
	v_fmac_f64_e32 v[30:31], 0.5, v[42:43]
	v_sub_f32_e32 v42, s22, v44
	v_mul_f32_e32 v42, 0x40400000, v42
	s_abs_i32 s26, s27
	v_cvt_f64_f32_e32 v[42:43], v42
	v_cvt_f32_u32_e32 v48, s26
	v_add_f64 v[44:45], v[42:43], 1.0
	v_mul_f64 v[46:47], v[42:43], v[42:43]
	v_fmac_f64_e32 v[44:45], 0.5, v[46:47]
	v_fmac_f64_e32 v[44:45], -0.5, v[34:35]
	v_fmac_f64_e32 v[14:15], -0.5, v[34:35]
	;; [unrolled: 1-line block ×6, first 2 shown]
	v_mul_f64 v[34:35], v[36:37], v[44:45]
	v_rcp_iflag_f32_e32 v44, v48
	v_mul_f64 v[14:15], v[36:37], v[14:15]
	v_mul_f64 v[18:19], v[36:37], v[18:19]
	;; [unrolled: 1-line block ×5, first 2 shown]
	s_abs_i32 s45, s3
	v_fma_f64 v[16:17], -v[40:41], v[16:17], v[14:15]
	v_fma_f64 v[20:21], -v[40:41], v[20:21], v[18:19]
	v_fma_f64 v[24:25], -v[40:41], v[24:25], v[22:23]
	v_fma_f64 v[28:29], -v[40:41], v[28:29], v[26:27]
	v_fma_f64 v[32:33], -v[40:41], v[32:33], v[30:31]
	v_fma_f64 v[36:37], -v[40:41], v[42:43], v[34:35]
	v_cvt_f32_u32_e32 v40, s45
	v_mul_f32_e32 v41, 0x4f7ffffe, v44
	v_cvt_u32_f32_e32 v41, v41
	s_abs_i32 s46, s44
	v_rcp_iflag_f32_e32 v40, v40
	v_cvt_f32_u32_e32 v43, s46
	s_sub_i32 s23, s37, s2
	s_sub_i32 s2, 0, s26
	v_mul_lo_u32 v42, s2, v41
	v_mul_hi_u32 v42, v41, v42
	v_mul_f32_e32 v40, 0x4f7ffffe, v40
	v_cvt_u32_f32_e32 v44, v40
	v_add_u32_e32 v40, v41, v42
	v_rcp_iflag_f32_e32 v41, v43
	s_abs_i32 s47, s9
	v_cvt_f32_u32_e32 v42, s47
	s_add_i32 s23, s23, s3
	v_mul_f32_e32 v41, 0x4f7ffffe, v41
	s_sub_i32 s2, 0, s45
	v_readfirstlane_b32 s3, v44
	v_cvt_u32_f32_e32 v41, v41
	s_mul_i32 s2, s2, s3
	v_rcp_iflag_f32_e32 v42, v42
	s_mul_hi_u32 s2, s3, s2
	s_add_i32 s48, s3, s2
	s_sub_i32 s2, 0, s46
	v_mul_lo_u32 v43, s2, v41
	v_mul_hi_u32 v43, v41, v43
	v_mul_f32_e32 v42, 0x4f7ffffe, v42
	s_abs_i32 s49, s25
	v_add_u32_e32 v41, v41, v43
	v_cvt_u32_f32_e32 v42, v42
	v_cvt_f32_u32_e32 v43, s49
	s_abs_i32 s50, s33
	s_sub_i32 s2, 0, s47
	v_readfirstlane_b32 s3, v42
	v_rcp_iflag_f32_e32 v42, v43
	v_cvt_f32_u32_e32 v43, s50
	s_mul_i32 s2, s2, s3
	s_mul_hi_u32 s2, s3, s2
	v_mul_f32_e32 v42, 0x4f7ffffe, v42
	v_rcp_iflag_f32_e32 v43, v43
	v_cvt_u32_f32_e32 v42, v42
	s_add_i32 s51, s3, s2
	s_sub_i32 s2, 0, s49
	v_mul_f32_e32 v43, 0x4f7ffffe, v43
	v_cvt_u32_f32_e32 v43, v43
	v_mul_lo_u32 v44, s2, v42
	v_mul_hi_u32 v44, v42, v44
	s_sub_i32 s2, 0, s50
	v_add_u32_e32 v42, v42, v44
	v_mul_lo_u32 v44, s2, v43
	v_mul_hi_u32 v44, v43, v44
	s_add_i32 s2, s25, s36
                                        ; kill: killed $sgpr0 killed $sgpr1
	v_cmp_gt_i32_e64 s[0:1], s44, v38
	s_add_i32 s7, s7, s27
	s_mul_i32 s34, s34, s42
	v_add_u32_e32 v43, v43, v44
	s_sub_i32 s24, s2, s24
	s_branch .LBB2_3
.LBB2_2:                                ;   in Loop: Header=BB2_3 Depth=1
	s_or_b64 exec, exec, s[36:37]
	s_add_i32 s8, s35, s8
	s_cmp_ge_i32 s8, s9
	s_cbranch_scc1 .LBB2_9
.LBB2_3:                                ; =>This Loop Header: Depth=1
                                        ;     Child Loop BB2_6 Depth 2
                                        ;       Child Loop BB2_8 Depth 3
	s_and_saveexec_b64 s[36:37], s[0:1]
	s_cbranch_execz .LBB2_2
; %bb.4:                                ;   in Loop: Header=BB2_3 Depth=1
	s_load_dword s2, s[4:5], 0xc
	s_load_dword s52, s[4:5], 0x0
	s_add_i32 s3, s23, s8
	s_add_i32 s38, s8, s9
	v_mov_b32_e32 v45, v38
	s_waitcnt lgkmcnt(0)
	s_and_b32 s2, s2, 0xffff
	s_mul_i32 s39, s6, s2
	s_mul_i32 s52, s52, s2
	s_ashr_i32 s2, s3, 31
	s_abs_i32 s3, s3
	v_add_u32_e32 v44, s39, v39
	s_mul_hi_u32 s39, s3, s48
	s_mul_i32 s39, s39, s45
	s_sub_i32 s3, s3, s39
	s_sub_i32 s39, s3, s45
	s_cmp_ge_u32 s3, s45
	s_cselect_b32 s3, s39, s3
	s_sub_i32 s39, s3, s45
	s_cmp_ge_u32 s3, s45
	s_cselect_b32 s3, s39, s3
	s_xor_b32 s3, s3, s2
	s_sub_i32 s53, s3, s2
	s_abs_i32 s3, s38
	s_ashr_i32 s2, s38, 31
	s_mul_hi_u32 s38, s3, s51
	s_mul_i32 s38, s38, s47
	s_sub_i32 s3, s3, s38
	s_sub_i32 s38, s3, s47
	s_cmp_ge_u32 s3, s47
	s_cselect_b32 s3, s38, s3
	s_sub_i32 s38, s3, s47
	s_cmp_ge_u32 s3, s47
	s_cselect_b32 s3, s38, s3
	s_xor_b32 s3, s3, s2
	s_sub_i32 s2, s3, s2
	s_mul_i32 s54, s2, s44
	s_add_i32 s2, s2, s9
	s_mul_i32 s55, s2, s44
	s_add_i32 s2, s2, s9
	;; [unrolled: 2-line block ×17, first 2 shown]
	s_add_i32 s72, s2, s9
	v_cmp_gt_i32_e32 vcc, s33, v44
	s_mul_i32 s53, s53, s27
	s_mul_i32 s71, s2, s44
	;; [unrolled: 1-line block ×3, first 2 shown]
	s_mov_b64 s[38:39], 0
	s_branch .LBB2_6
.LBB2_5:                                ;   in Loop: Header=BB2_6 Depth=2
	s_or_b64 exec, exec, s[40:41]
	v_add_u32_e32 v45, s34, v45
	v_cmp_le_i32_e64 s[2:3], s44, v45
	s_or_b64 s[38:39], s[2:3], s[38:39]
	s_andn2_b64 exec, exec, s[38:39]
	s_cbranch_execz .LBB2_2
.LBB2_6:                                ;   Parent Loop BB2_3 Depth=1
                                        ; =>  This Loop Header: Depth=2
                                        ;       Child Loop BB2_8 Depth 3
	s_and_saveexec_b64 s[40:41], vcc
	s_cbranch_execz .LBB2_5
; %bb.7:                                ;   in Loop: Header=BB2_6 Depth=2
	v_add_u32_e32 v46, s7, v45
	v_sub_u32_e32 v48, 0, v46
	v_ashrrev_i32_e32 v47, 31, v46
	v_max_i32_e32 v46, v46, v48
	v_mul_hi_u32 v48, v46, v40
	v_mul_lo_u32 v48, v48, s26
	v_sub_u32_e32 v46, v46, v48
	v_subrev_u32_e32 v48, s26, v46
	v_cmp_le_u32_e64 s[2:3], s26, v46
	v_cndmask_b32_e64 v46, v46, v48, s[2:3]
	v_subrev_u32_e32 v48, s26, v46
	v_cmp_le_u32_e64 s[2:3], s26, v46
	v_cndmask_b32_e64 v46, v46, v48, s[2:3]
	v_xor_b32_e32 v46, v46, v47
	v_sub_u32_e32 v46, v46, v47
	v_add_u32_e32 v47, s44, v45
	v_sub_u32_e32 v49, 0, v47
	v_ashrrev_i32_e32 v48, 31, v47
	v_max_i32_e32 v47, v47, v49
	v_mul_hi_u32 v49, v47, v41
	v_mul_lo_u32 v49, v49, s46
	v_sub_u32_e32 v47, v47, v49
	v_subrev_u32_e32 v49, s46, v47
	v_cmp_le_u32_e64 s[2:3], s46, v47
	v_cndmask_b32_e64 v47, v47, v49, s[2:3]
	v_subrev_u32_e32 v49, s46, v47
	v_cmp_le_u32_e64 s[2:3], s46, v47
	v_cndmask_b32_e64 v47, v47, v49, s[2:3]
	v_xor_b32_e32 v47, v47, v48
	v_sub_u32_e32 v65, v47, v48
	v_add_u32_e32 v46, s53, v46
	v_add_u32_e32 v47, s54, v65
	;; [unrolled: 1-line block ×20, first 2 shown]
	v_mul_lo_u32 v46, v46, s25
	v_mul_lo_u32 v47, v47, s33
	;; [unrolled: 1-line block ×20, first 2 shown]
	s_mov_b64 s[42:43], 0
	v_mov_b32_e32 v66, v44
.LBB2_8:                                ;   Parent Loop BB2_3 Depth=1
                                        ;     Parent Loop BB2_6 Depth=2
                                        ; =>    This Inner Loop Header: Depth=3
	v_add_u32_e32 v67, s24, v66
	v_sub_u32_e32 v69, 0, v67
	v_ashrrev_i32_e32 v68, 31, v67
	v_max_i32_e32 v67, v67, v69
	v_mul_hi_u32 v69, v67, v42
	v_mul_lo_u32 v69, v69, s49
	v_sub_u32_e32 v67, v67, v69
	v_cmp_le_u32_e64 s[2:3], s49, v67
	v_subrev_u32_e32 v69, s49, v67
	v_cndmask_b32_e64 v67, v67, v69, s[2:3]
	v_cmp_le_u32_e64 s[2:3], s49, v67
	v_subrev_u32_e32 v69, s49, v67
	v_cndmask_b32_e64 v67, v67, v69, s[2:3]
	v_xor_b32_e32 v67, v67, v68
	v_sub_u32_e32 v67, v67, v68
	v_add_u32_e32 v68, v46, v67
	v_ashrrev_i32_e32 v69, 31, v68
	v_lshlrev_b64 v[70:71], 3, v[68:69]
	v_add_co_u32_e64 v70, s[2:3], s12, v70
	v_mov_b32_e32 v67, s13
	v_addc_co_u32_e64 v71, s[2:3], v67, v71, s[2:3]
	v_pk_mov_b32 v[72:73], s[30:31], s[30:31] op_sel:[0,1]
	v_lshlrev_b64 v[68:69], 2, v[68:69]
	global_store_dwordx2 v[70:71], v[72:73], off
	v_add_co_u32_e64 v70, s[2:3], s16, v68
	v_mov_b32_e32 v67, s17
	v_addc_co_u32_e64 v71, s[2:3], v67, v69, s[2:3]
	v_mov_b32_e32 v67, s20
	global_store_dword v[70:71], v67, off
	v_add_co_u32_e64 v70, s[2:3], s18, v68
	v_mov_b32_e32 v67, s19
	v_addc_co_u32_e64 v71, s[2:3], v67, v69, s[2:3]
	v_mov_b32_e32 v67, s21
	global_store_dword v[70:71], v67, off
	;; [unrolled: 5-line block ×3, first 2 shown]
	v_add_u32_e32 v67, s33, v66
	v_sub_u32_e32 v69, 0, v67
	v_ashrrev_i32_e32 v68, 31, v67
	v_max_i32_e32 v67, v67, v69
	v_mul_hi_u32 v69, v67, v43
	v_mul_lo_u32 v69, v69, s50
	v_sub_u32_e32 v67, v67, v69
	v_cmp_le_u32_e64 s[2:3], s50, v67
	v_subrev_u32_e32 v69, s50, v67
	v_cndmask_b32_e64 v67, v67, v69, s[2:3]
	v_cmp_le_u32_e64 s[2:3], s50, v67
	v_subrev_u32_e32 v69, s50, v67
	v_cndmask_b32_e64 v67, v67, v69, s[2:3]
	v_xor_b32_e32 v67, v67, v68
	v_sub_u32_e32 v67, v67, v68
	v_add_u32_e32 v68, v47, v67
	v_ashrrev_i32_e32 v69, 31, v68
	v_lshlrev_b64 v[70:71], 3, v[68:69]
	v_add_co_u32_e64 v72, s[2:3], s14, v70
	v_mov_b32_e32 v68, s15
	v_addc_co_u32_e64 v73, s[2:3], v68, v71, s[2:3]
	v_add_co_u32_e64 v70, s[2:3], s28, v70
	v_mov_b32_e32 v69, s29
	v_addc_co_u32_e64 v71, s[2:3], v69, v71, s[2:3]
	global_store_dwordx2 v[72:73], v[0:1], off
	global_store_dwordx2 v[70:71], v[0:1], off
	v_add_u32_e32 v70, v48, v67
	v_ashrrev_i32_e32 v71, 31, v70
	v_lshlrev_b64 v[70:71], 3, v[70:71]
	v_add_co_u32_e64 v72, s[2:3], s14, v70
	v_addc_co_u32_e64 v73, s[2:3], v68, v71, s[2:3]
	v_add_co_u32_e64 v70, s[2:3], s28, v70
	v_addc_co_u32_e64 v71, s[2:3], v69, v71, s[2:3]
	global_store_dwordx2 v[72:73], v[2:3], off
	global_store_dwordx2 v[70:71], v[2:3], off
	v_add_u32_e32 v70, v49, v67
	v_ashrrev_i32_e32 v71, 31, v70
	v_lshlrev_b64 v[70:71], 3, v[70:71]
	v_add_co_u32_e64 v72, s[2:3], s14, v70
	v_addc_co_u32_e64 v73, s[2:3], v68, v71, s[2:3]
	v_add_co_u32_e64 v70, s[2:3], s28, v70
	;; [unrolled: 9-line block ×18, first 2 shown]
	v_addc_co_u32_e64 v69, s[2:3], v69, v71, s[2:3]
	v_add_u32_e32 v66, s52, v66
	v_cmp_le_i32_e64 s[2:3], s33, v66
	s_or_b64 s[42:43], s[2:3], s[42:43]
	global_store_dwordx2 v[72:73], v[36:37], off
	global_store_dwordx2 v[68:69], v[36:37], off
	s_andn2_b64 exec, exec, s[42:43]
	s_cbranch_execnz .LBB2_8
	s_branch .LBB2_5
.LBB2_9:
	s_endpgm
	.section	.rodata,"a",@progbits
	.p2align	6, 0x0
	.amdhsa_kernel _Z15init_velocity_gIL12lattice_type19EEv8lbm_vars5BoxCUS2_dfffd
		.amdhsa_group_segment_fixed_size 0
		.amdhsa_private_segment_fixed_size 0
		.amdhsa_kernarg_size 456
		.amdhsa_user_sgpr_count 6
		.amdhsa_user_sgpr_private_segment_buffer 1
		.amdhsa_user_sgpr_dispatch_ptr 0
		.amdhsa_user_sgpr_queue_ptr 0
		.amdhsa_user_sgpr_kernarg_segment_ptr 1
		.amdhsa_user_sgpr_dispatch_id 0
		.amdhsa_user_sgpr_flat_scratch_init 0
		.amdhsa_user_sgpr_kernarg_preload_length 0
		.amdhsa_user_sgpr_kernarg_preload_offset 0
		.amdhsa_user_sgpr_private_segment_size 0
		.amdhsa_uses_dynamic_stack 0
		.amdhsa_system_sgpr_private_segment_wavefront_offset 0
		.amdhsa_system_sgpr_workgroup_id_x 1
		.amdhsa_system_sgpr_workgroup_id_y 1
		.amdhsa_system_sgpr_workgroup_id_z 1
		.amdhsa_system_sgpr_workgroup_info 0
		.amdhsa_system_vgpr_workitem_id 1
		.amdhsa_next_free_vgpr 74
		.amdhsa_next_free_sgpr 73
		.amdhsa_accum_offset 76
		.amdhsa_reserve_vcc 1
		.amdhsa_reserve_flat_scratch 0
		.amdhsa_float_round_mode_32 0
		.amdhsa_float_round_mode_16_64 0
		.amdhsa_float_denorm_mode_32 3
		.amdhsa_float_denorm_mode_16_64 3
		.amdhsa_dx10_clamp 1
		.amdhsa_ieee_mode 1
		.amdhsa_fp16_overflow 0
		.amdhsa_tg_split 0
		.amdhsa_exception_fp_ieee_invalid_op 0
		.amdhsa_exception_fp_denorm_src 0
		.amdhsa_exception_fp_ieee_div_zero 0
		.amdhsa_exception_fp_ieee_overflow 0
		.amdhsa_exception_fp_ieee_underflow 0
		.amdhsa_exception_fp_ieee_inexact 0
		.amdhsa_exception_int_div_zero 0
	.end_amdhsa_kernel
	.section	.text._Z15init_velocity_gIL12lattice_type19EEv8lbm_vars5BoxCUS2_dfffd,"axG",@progbits,_Z15init_velocity_gIL12lattice_type19EEv8lbm_vars5BoxCUS2_dfffd,comdat
.Lfunc_end2:
	.size	_Z15init_velocity_gIL12lattice_type19EEv8lbm_vars5BoxCUS2_dfffd, .Lfunc_end2-_Z15init_velocity_gIL12lattice_type19EEv8lbm_vars5BoxCUS2_dfffd
                                        ; -- End function
	.section	.AMDGPU.csdata,"",@progbits
; Kernel info:
; codeLenInByte = 3616
; NumSgprs: 77
; NumVgprs: 74
; NumAgprs: 0
; TotalNumVgprs: 74
; ScratchSize: 0
; MemoryBound: 0
; FloatMode: 240
; IeeeMode: 1
; LDSByteSize: 0 bytes/workgroup (compile time only)
; SGPRBlocks: 9
; VGPRBlocks: 9
; NumSGPRsForWavesPerEU: 77
; NumVGPRsForWavesPerEU: 74
; AccumOffset: 76
; Occupancy: 6
; WaveLimiterHint : 1
; COMPUTE_PGM_RSRC2:SCRATCH_EN: 0
; COMPUTE_PGM_RSRC2:USER_SGPR: 6
; COMPUTE_PGM_RSRC2:TRAP_HANDLER: 0
; COMPUTE_PGM_RSRC2:TGID_X_EN: 1
; COMPUTE_PGM_RSRC2:TGID_Y_EN: 1
; COMPUTE_PGM_RSRC2:TGID_Z_EN: 1
; COMPUTE_PGM_RSRC2:TIDIG_COMP_CNT: 1
; COMPUTE_PGM_RSRC3_GFX90A:ACCUM_OFFSET: 18
; COMPUTE_PGM_RSRC3_GFX90A:TG_SPLIT: 0
	.section	.text._Z20collide_and_stream_gIL12lattice_type19EEv8lbm_vars5BoxCUddbi,"axG",@progbits,_Z20collide_and_stream_gIL12lattice_type19EEv8lbm_vars5BoxCUddbi,comdat
	.protected	_Z20collide_and_stream_gIL12lattice_type19EEv8lbm_vars5BoxCUddbi ; -- Begin function _Z20collide_and_stream_gIL12lattice_type19EEv8lbm_vars5BoxCUddbi
	.globl	_Z20collide_and_stream_gIL12lattice_type19EEv8lbm_vars5BoxCUddbi
	.p2align	8
	.type	_Z20collide_and_stream_gIL12lattice_type19EEv8lbm_vars5BoxCUddbi,@function
_Z20collide_and_stream_gIL12lattice_type19EEv8lbm_vars5BoxCUddbi: ; @_Z20collide_and_stream_gIL12lattice_type19EEv8lbm_vars5BoxCUddbi
; %bb.0:
                                        ; implicit-def: $vgpr136 : SGPR spill to VGPR lane
	s_add_u32 s0, s4, 0x78
	v_writelane_b32 v136, s6, 0
	s_load_dword s6, s[4:5], 0x8c
	s_addc_u32 s1, s5, 0
	s_waitcnt lgkmcnt(0)
	s_cmp_ge_i32 s8, s6
	s_cbranch_scc1 .LBB3_119
; %bb.1:
	s_load_dword s3, s[4:5], 0xa0
	s_load_dword s9, s[0:1], 0x4
	s_load_dwordx2 s[58:59], s[4:5], 0xac
	s_load_dword s2, s[4:5], 0xb4
	v_bfe_u32 v1, v0, 10, 10
	s_waitcnt lgkmcnt(0)
	s_bitcmp1_b32 s3, 0
	s_cselect_b64 s[28:29], -1, 0
	s_add_u32 s10, s4, 0xa8
	s_load_dwordx4 s[20:23], s[4:5], 0x90
	s_load_dwordx2 s[30:31], s[4:5], 0x70
	s_load_dword s3, s[0:1], 0xc
	s_load_dwordx2 s[34:35], s[4:5], 0x28
	s_load_dwordx4 s[24:27], s[4:5], 0x18
	s_addc_u32 s11, s5, 0
	s_lshr_b32 s1, s2, 16
	s_mul_i32 s7, s7, s1
	v_writelane_b32 v136, s10, 1
	v_add_u32_e32 v66, s7, v1
	v_writelane_b32 v136, s11, 2
	s_waitcnt lgkmcnt(0)
	v_cmp_gt_i32_e64 s[10:11], s3, v66
	v_writelane_b32 v136, s10, 3
	v_writelane_b32 v136, s11, 4
	s_mul_i32 s2, s6, s3
	v_writelane_b32 v136, s2, 5
	s_mul_i32 s10, s2, 13
	;; [unrolled: 2-line block ×4, first 2 shown]
	v_writelane_b32 v136, s11, 8
	s_lshl_b32 s13, s2, 4
	v_writelane_b32 v136, s12, 9
	s_mul_i32 s15, s2, 17
	v_writelane_b32 v136, s13, 10
	s_mul_i32 s17, s2, 18
	v_writelane_b32 v136, s15, 11
	s_lshl_b32 s7, s2, 3
	v_writelane_b32 v136, s17, 12
	s_mov_b32 s33, s8
	s_mul_i32 s8, s2, 9
	v_writelane_b32 v136, s7, 13
	s_mul_i32 s0, s6, s9
	v_writelane_b32 v136, s8, 14
	s_mul_i32 s38, s0, s3
	s_mul_i32 s72, s8, s9
	v_writelane_b32 v136, s3, 15
	s_abs_i32 s8, s3
	s_load_dword s3, s[4:5], 0x8c
	v_cvt_f32_u32_e32 v10, s8
	v_writelane_b32 v136, s58, 16
	s_abs_i32 s79, s9
	v_writelane_b32 v136, s59, 17
	v_rcp_iflag_f32_e32 v12, v10
	s_waitcnt lgkmcnt(0)
	s_abs_i32 s3, s3
	v_cvt_f32_u32_e32 v13, s3
	s_mul_i32 s1, s58, s1
	v_mul_f32_e32 v12, 0x4f7ffffe, v12
	v_cvt_u32_f32_e32 v12, v12
	v_rcp_iflag_f32_e32 v13, v13
	v_cvt_f32_u32_e32 v15, s79
	v_writelane_b32 v136, s1, 18
	s_sub_i32 s1, 0, s8
	v_mul_lo_u32 v14, s1, v12
	v_mul_f32_e32 v13, 0x4f7ffffe, v13
	v_mul_hi_u32 v14, v12, v14
	v_cvt_u32_f32_e32 v13, v13
	v_add_u32_e32 v68, v12, v14
	v_rcp_iflag_f32_e32 v12, v15
	v_writelane_b32 v136, s3, 19
	s_sub_i32 s1, 0, s3
	v_readfirstlane_b32 s3, v13
	s_mul_i32 s0, s2, s9
	s_mul_i32 s1, s1, s3
	v_mul_f32_e32 v12, 0x4f7ffffe, v12
	s_mul_i32 s2, s0, 10
	s_mul_i32 s12, s12, s9
	;; [unrolled: 1-line block ×5, first 2 shown]
	v_cvt_f32_f64_e32 v6, s[20:21]
	s_mov_b32 s20, 0x55555555
	v_cvt_u32_f32_e32 v12, v12
	s_mul_hi_u32 s1, s3, s1
	v_cvt_f64_f32_e64 v[2:3], -v6
	s_mov_b32 s21, 0x3fd55555
	v_cvt_f64_f32_e32 v[8:9], v6
	s_add_i32 s1, s3, s1
	s_ashr_i32 s3, s2, 31
	s_ashr_i32 s13, s12, 31
	;; [unrolled: 1-line block ×5, first 2 shown]
	v_and_b32_e32 v67, 0x3ff, v0
	v_mul_f64 v[0:1], v[2:3], s[20:21]
	s_mov_b32 s56, s20
	v_mul_f64 v[4:5], v[8:9], s[20:21]
	s_lshl_b64 s[20:21], s[2:3], 3
	s_load_dword s3, s[4:5], 0x8c
	s_lshl_b64 s[60:61], s[12:13], 3
	s_lshl_b64 s[62:63], s[14:15], 3
	s_lshl_b64 s[64:65], s[16:17], 3
	s_lshl_b64 s[66:67], s[18:19], 3
	s_load_dwordx8 s[12:19], s[4:5], 0x50
	v_writelane_b32 v136, s1, 20
	s_sub_i32 s1, 0, s79
	s_mul_i32 s6, s10, s9
	s_mul_i32 s10, s11, s9
	;; [unrolled: 1-line block ×3, first 2 shown]
	v_add_f32_e32 v6, 0, v6
	v_mul_lo_u32 v13, s1, v12
	s_lshl_b32 s40, s0, 1
	s_mul_i32 s42, s0, 3
	s_lshl_b32 s44, s0, 2
	s_mul_i32 s46, s0, 5
	s_mul_i32 s48, s0, 6
	;; [unrolled: 1-line block ×5, first 2 shown]
	s_mov_b32 s57, 0x3fc55555
	v_cvt_f64_f32_e32 v[6:7], v6
	v_mul_hi_u32 v13, v12, v13
	s_ashr_i32 s7, s6, 31
	s_ashr_i32 s11, s10, 31
	;; [unrolled: 1-line block ×5, first 2 shown]
	s_mov_b32 s74, 0
	s_mov_b32 s76, 0
	v_mul_f64 v[2:3], v[2:3], s[56:57]
	v_mul_f64 v[6:7], v[6:7], s[56:57]
	;; [unrolled: 1-line block ×3, first 2 shown]
	v_add_f64 v[10:11], -s[22:23], 1.0
	v_add_u32_e32 v69, v12, v13
	s_ashr_i32 s53, s52, 31
	s_ashr_i32 s55, s54, 31
	;; [unrolled: 1-line block ×9, first 2 shown]
	s_mov_b32 s2, s33
	s_lshl_b64 s[56:57], s[6:7], 3
	s_lshl_b64 s[58:59], s[10:11], 3
	;; [unrolled: 1-line block ×5, first 2 shown]
	s_mov_b32 s75, 0x40420000
	s_mov_b32 s78, 0xc0400000
	v_mov_b32_e32 v70, -2
	v_mov_b32_e32 v71, 2
	v_mov_b32_e32 v72, 3
	;; [unrolled: 1-line block ×5, first 2 shown]
	s_mov_b32 s77, 0x40280000
                                        ; implicit-def: $vgpr77
                                        ; implicit-def: $vgpr12_vgpr13
	s_branch .LBB3_4
.LBB3_2:                                ;   in Loop: Header=BB3_4 Depth=1
	s_or_b64 exec, exec, s[80:81]
	v_readlane_b32 s2, v136, 23
	v_readlane_b32 s3, v136, 6
.LBB3_3:                                ;   in Loop: Header=BB3_4 Depth=1
	v_readlane_b32 s0, v136, 21
	v_readlane_b32 s1, v136, 22
	s_or_b64 exec, exec, s[0:1]
	v_readlane_b32 s0, v136, 16
	v_readlane_b32 s1, v136, 17
	s_add_i32 s2, s1, s2
	s_waitcnt lgkmcnt(0)
	s_cmp_ge_i32 s2, s3
	s_cbranch_scc1 .LBB3_119
.LBB3_4:                                ; =>This Loop Header: Depth=1
                                        ;     Child Loop BB3_8 Depth 2
                                        ;       Child Loop BB3_12 Depth 3
	s_mov_b64 s[4:5], exec
	v_readlane_b32 s0, v136, 3
	v_readlane_b32 s1, v136, 4
	v_writelane_b32 v136, s4, 21
	s_and_b64 s[0:1], s[4:5], s[0:1]
	v_writelane_b32 v136, s5, 22
	s_mov_b64 exec, s[0:1]
	s_cbranch_execz .LBB3_3
; %bb.5:                                ;   in Loop: Header=BB3_4 Depth=1
	v_readlane_b32 s4, v136, 1
	v_readlane_b32 s5, v136, 2
	s_load_dword s0, s[4:5], 0xc
	s_load_dword s33, s[4:5], 0x0
	v_writelane_b32 v136, s2, 23
	s_waitcnt lgkmcnt(0)
	s_add_i32 s1, s2, s3
	v_readlane_b32 s2, v136, 0
	s_and_b32 s0, s0, 0xffff
	s_add_i32 s4, s1, 1
	s_add_i32 s5, s1, -1
	s_mul_i32 s2, s2, s0
	s_mul_i32 s33, s33, s0
	s_ashr_i32 s0, s1, 31
	s_abs_i32 s1, s1
	v_readlane_b32 s10, v136, 20
	s_mul_hi_u32 s6, s1, s10
	v_readlane_b32 s7, v136, 19
	s_mul_i32 s6, s6, s7
	s_sub_i32 s1, s1, s6
	s_sub_i32 s6, s1, s7
	s_cmp_ge_u32 s1, s7
	s_cselect_b32 s1, s6, s1
	s_sub_i32 s6, s1, s7
	s_cmp_ge_u32 s1, s7
	s_cselect_b32 s1, s6, s1
	s_xor_b32 s1, s1, s0
	s_sub_i32 s0, s1, s0
	v_readlane_b32 s6, v136, 15
	s_mul_i32 s0, s0, s6
	s_abs_i32 s1, s4
	v_writelane_b32 v136, s0, 24
	s_ashr_i32 s0, s4, 31
	s_mul_hi_u32 s4, s1, s10
	s_mul_i32 s4, s4, s7
	s_sub_i32 s1, s1, s4
	s_sub_i32 s4, s1, s7
	s_cmp_ge_u32 s1, s7
	s_cselect_b32 s1, s4, s1
	s_sub_i32 s4, s1, s7
	s_cmp_ge_u32 s1, s7
	s_cselect_b32 s1, s4, s1
	s_xor_b32 s1, s1, s0
	s_sub_i32 s0, s1, s0
	s_abs_i32 s1, s5
	s_mul_hi_u32 s4, s1, s10
	s_mul_i32 s4, s4, s7
	s_sub_i32 s1, s1, s4
	s_mul_i32 s11, s0, s6
	s_ashr_i32 s0, s5, 31
	s_sub_i32 s4, s1, s7
	s_cmp_ge_u32 s1, s7
	s_cselect_b32 s1, s4, s1
	s_sub_i32 s4, s1, s7
	s_cmp_ge_u32 s1, s7
	s_cselect_b32 s1, s4, s1
	s_xor_b32 s1, s1, s0
	s_sub_i32 s0, s1, s0
	s_mul_i32 s0, s0, s6
	v_writelane_b32 v136, s0, 25
	v_add_u32_e32 v76, s2, v67
	v_readlane_b32 s0, v136, 12
	v_cmp_gt_i32_e64 s[2:3], s9, v76
	v_writelane_b32 v136, s11, 26
	s_add_i32 s0, s11, s0
	s_mov_b64 s[80:81], 0
	v_mov_b32_e32 v78, v66
	v_writelane_b32 v136, s0, 27
	s_branch .LBB3_8
.LBB3_6:                                ;   in Loop: Header=BB3_8 Depth=2
	s_or_b64 exec, exec, s[84:85]
.LBB3_7:                                ;   in Loop: Header=BB3_8 Depth=2
	s_or_b64 exec, exec, s[82:83]
	v_readlane_b32 s0, v136, 18
	v_add_u32_e32 v78, s0, v78
	v_readlane_b32 s0, v136, 15
	v_cmp_le_i32_e32 vcc, s0, v78
	s_or_b64 s[80:81], vcc, s[80:81]
	s_andn2_b64 exec, exec, s[80:81]
	s_cbranch_execz .LBB3_2
.LBB3_8:                                ;   Parent Loop BB3_4 Depth=1
                                        ; =>  This Loop Header: Depth=2
                                        ;       Child Loop BB3_12 Depth 3
	s_and_saveexec_b64 s[82:83], s[2:3]
	s_cbranch_execz .LBB3_7
; %bb.9:                                ;   in Loop: Header=BB3_8 Depth=2
	v_readlane_b32 s0, v136, 15
	v_add_u32_e32 v14, s0, v78
	v_sub_u32_e32 v16, 0, v14
	v_max_i32_e32 v16, v14, v16
	v_mul_hi_u32 v17, v16, v68
	v_mul_lo_u32 v17, v17, s8
	v_sub_u32_e32 v16, v16, v17
	v_subrev_u32_e32 v17, s8, v16
	v_cmp_le_u32_e32 vcc, s8, v16
	v_cndmask_b32_e32 v16, v16, v17, vcc
	v_subrev_u32_e32 v17, s8, v16
	v_cmp_le_u32_e32 vcc, s8, v16
	v_ashrrev_i32_e32 v15, 31, v14
	v_cndmask_b32_e32 v16, v16, v17, vcc
	v_xor_b32_e32 v16, v16, v15
	v_sub_u32_e32 v15, v16, v15
	v_readlane_b32 s4, v136, 24
	v_add_u32_e32 v16, s4, v15
	v_readlane_b32 s0, v136, 5
	v_mul_lo_u32 v79, v16, s9
	v_add_u32_e32 v16, s0, v16
	v_add_u32_e32 v17, 1, v14
	v_readlane_b32 s1, v136, 14
	v_mul_lo_u32 v80, v16, s9
	v_add_u32_e32 v16, s1, v16
	v_sub_u32_e32 v18, 0, v17
	v_mul_lo_u32 v81, v16, s9
	v_ashrrev_i32_e32 v16, 31, v17
	v_max_i32_e32 v17, v17, v18
	v_add_u32_e32 v14, -1, v14
	v_mul_hi_u32 v18, v17, v68
	v_mul_lo_u32 v18, v18, s8
	v_sub_u32_e32 v20, 0, v14
	v_sub_u32_e32 v17, v17, v18
	v_ashrrev_i32_e32 v19, 31, v14
	v_max_i32_e32 v14, v14, v20
	v_subrev_u32_e32 v18, s8, v17
	v_cmp_le_u32_e32 vcc, s8, v17
	v_mul_hi_u32 v20, v14, v68
	v_cndmask_b32_e32 v17, v17, v18, vcc
	v_mul_lo_u32 v20, v20, s8
	v_subrev_u32_e32 v18, s8, v17
	v_cmp_le_u32_e32 vcc, s8, v17
	v_sub_u32_e32 v14, v14, v20
	v_cndmask_b32_e32 v17, v17, v18, vcc
	v_subrev_u32_e32 v20, s8, v14
	v_cmp_le_u32_e32 vcc, s8, v14
	v_cndmask_b32_e32 v14, v14, v20, vcc
	v_subrev_u32_e32 v20, s8, v14
	v_cmp_le_u32_e32 vcc, s8, v14
	v_cndmask_b32_e32 v14, v14, v20, vcc
	v_xor_b32_e32 v17, v17, v16
	v_xor_b32_e32 v14, v14, v19
	v_sub_u32_e32 v16, v17, v16
	v_sub_u32_e32 v14, v14, v19
	v_add_u32_e32 v17, s4, v16
	v_add_u32_e32 v19, s4, v14
	v_readlane_b32 s4, v136, 25
	v_readlane_b32 s1, v136, 13
	;; [unrolled: 1-line block ×3, first 2 shown]
	v_add_u32_e32 v16, s1, v16
	s_add_i32 s0, s4, s0
	v_add_u32_e32 v20, s5, v16
	v_add_u32_e32 v16, s0, v16
	v_readlane_b32 s0, v136, 7
	v_mul_lo_u32 v87, v16, s9
	v_add_u32_e32 v16, s0, v19
	v_readlane_b32 s0, v136, 8
	v_add_u32_e32 v18, s5, v15
	v_add_u32_e32 v15, s4, v15
	v_mul_lo_u32 v88, v16, s9
	v_add_u32_e32 v16, s0, v17
	v_readlane_b32 s0, v136, 9
	v_mul_lo_u32 v85, v15, s9
	v_add_u32_e32 v15, s0, v15
	v_readlane_b32 s0, v136, 10
	;; [unrolled: 3-line block ×3, first 2 shown]
	s_add_i32 s0, s4, s0
	v_mul_lo_u32 v91, v15, s9
	v_add_u32_e32 v15, s0, v14
	v_readlane_b32 s0, v136, 27
	v_add_u32_e32 v14, s0, v14
	v_mul_lo_u32 v82, v17, s9
	v_mul_lo_u32 v83, v18, s9
	;; [unrolled: 1-line block ×7, first 2 shown]
	s_mov_b64 s[84:85], 0
	v_mov_b32_e32 v94, v76
	s_branch .LBB3_12
.LBB3_10:                               ;   in Loop: Header=BB3_12 Depth=3
	s_or_b64 exec, exec, s[0:1]
	v_mov_b32_e32 v54, s15
	v_add_co_u32_e32 v16, vcc, s14, v16
	v_addc_co_u32_e32 v17, vcc, v54, v17, vcc
	s_lshl_b64 s[0:1], s[38:39], 3
	global_store_dwordx2 v[16:17], v[18:19], off
	v_add_co_u32_e32 v16, vcc, s0, v16
	s_add_i32 s0, s38, s38
	v_mov_b32_e32 v15, s1
	v_add_u32_e32 v14, s0, v14
	v_addc_co_u32_e32 v17, vcc, v17, v15, vcc
	v_ashrrev_i32_e32 v15, 31, v14
	global_store_dwordx2 v[16:17], v[42:43], off
	v_lshlrev_b64 v[16:17], 3, v[14:15]
	v_add_co_u32_e32 v16, vcc, s14, v16
	v_add_u32_e32 v14, s38, v14
	v_addc_co_u32_e32 v17, vcc, v54, v17, vcc
	v_ashrrev_i32_e32 v15, 31, v14
	global_store_dwordx2 v[16:17], v[36:37], off
	v_lshlrev_b64 v[16:17], 3, v[14:15]
	v_add_co_u32_e32 v16, vcc, s14, v16
	;; [unrolled: 6-line block ×15, first 2 shown]
	v_add_u32_e32 v14, s38, v14
	v_addc_co_u32_e32 v17, vcc, v54, v17, vcc
	v_ashrrev_i32_e32 v15, 31, v14
	global_store_dwordx2 v[16:17], v[26:27], off
	v_lshlrev_b64 v[16:17], 3, v[14:15]
	v_add_u32_e32 v14, s38, v14
	v_add_co_u32_e32 v16, vcc, s14, v16
	v_ashrrev_i32_e32 v15, 31, v14
	v_addc_co_u32_e32 v17, vcc, v54, v17, vcc
	v_lshlrev_b64 v[14:15], 3, v[14:15]
	v_add_co_u32_e32 v14, vcc, s14, v14
	v_addc_co_u32_e32 v15, vcc, v54, v15, vcc
	global_store_dwordx2 v[16:17], v[52:53], off
	global_store_dwordx2 v[14:15], v[22:23], off
.LBB3_11:                               ;   in Loop: Header=BB3_12 Depth=3
	s_or_b64 exec, exec, s[86:87]
	v_add_u32_e32 v94, s33, v94
	v_cmp_le_i32_e32 vcc, s9, v94
	s_or_b64 s[84:85], vcc, s[84:85]
	s_andn2_b64 exec, exec, s[84:85]
	s_cbranch_execz .LBB3_6
.LBB3_12:                               ;   Parent Loop BB3_4 Depth=1
                                        ;     Parent Loop BB3_8 Depth=2
                                        ; =>    This Inner Loop Header: Depth=3
	v_add_u32_e32 v23, s9, v94
	v_sub_u32_e32 v15, 0, v23
	v_max_i32_e32 v15, v23, v15
	v_mul_hi_u32 v16, v15, v69
	v_mul_lo_u32 v16, v16, s79
	v_sub_u32_e32 v15, v15, v16
	v_subrev_u32_e32 v16, s79, v15
	v_cmp_le_u32_e32 vcc, s79, v15
	v_cndmask_b32_e32 v15, v15, v16, vcc
	v_subrev_u32_e32 v16, s79, v15
	v_cmp_le_u32_e32 vcc, s79, v15
	v_ashrrev_i32_e32 v14, 31, v23
	v_cndmask_b32_e32 v15, v15, v16, vcc
	v_xor_b32_e32 v15, v15, v14
	v_sub_u32_e32 v22, v15, v14
	v_add_u32_e32 v14, v79, v22
	v_ashrrev_i32_e32 v15, 31, v14
	v_mov_b32_e32 v17, s17
	v_add_co_u32_e32 v16, vcc, s16, v14
	v_addc_co_u32_e32 v17, vcc, v17, v15, vcc
	global_load_ubyte v95, v[16:17], off
	s_mov_b64 s[0:1], 0
	s_waitcnt vmcnt(0)
	v_cmp_lt_i16_e32 vcc, 9, v95
	s_and_saveexec_b64 s[4:5], vcc
	s_xor_b64 s[4:5], exec, s[4:5]
	s_cbranch_execnz .LBB3_15
; %bb.13:                               ;   in Loop: Header=BB3_12 Depth=3
	s_andn2_saveexec_b64 s[4:5], s[4:5]
	s_cbranch_execnz .LBB3_16
.LBB3_14:                               ;   in Loop: Header=BB3_12 Depth=3
	s_or_b64 exec, exec, s[4:5]
	s_and_saveexec_b64 s[86:87], s[0:1]
	s_cbranch_execz .LBB3_11
	s_branch .LBB3_17
.LBB3_15:                               ;   in Loop: Header=BB3_12 Depth=3
	v_cmp_ne_u16_e32 vcc, 10, v95
	s_and_b64 s[0:1], vcc, exec
	s_andn2_saveexec_b64 s[4:5], s[4:5]
	s_cbranch_execz .LBB3_14
.LBB3_16:                               ;   in Loop: Header=BB3_12 Depth=3
	v_cmp_ne_u16_e32 vcc, 4, v95
	s_andn2_b64 s[0:1], s[0:1], exec
	s_and_b64 s[6:7], vcc, exec
	s_or_b64 s[0:1], s[0:1], s[6:7]
	s_or_b64 exec, exec, s[4:5]
	s_and_saveexec_b64 s[86:87], s[0:1]
	s_cbranch_execz .LBB3_11
.LBB3_17:                               ;   in Loop: Header=BB3_12 Depth=3
	v_mov_b32_e32 v17, s31
	v_add_co_u32_e32 v16, vcc, s30, v14
	v_add_u32_e32 v20, 1, v23
	v_not_b32_e32 v24, v23
	v_addc_co_u32_e32 v17, vcc, v17, v15, vcc
	v_ashrrev_i32_e32 v21, 31, v20
	v_max_i32_e32 v20, v20, v24
	global_load_ubyte v96, v[16:17], off
	v_lshlrev_b64 v[16:17], 3, v[14:15]
	v_mul_hi_u32 v24, v20, v69
	v_mov_b32_e32 v60, s13
	v_add_co_u32_e32 v58, vcc, s12, v16
	v_mul_lo_u32 v24, v24, s79
	v_addc_co_u32_e32 v59, vcc, v60, v17, vcc
	v_sub_u32_e32 v20, v20, v24
	v_subrev_u32_e32 v24, s79, v20
	v_cmp_le_u32_e32 vcc, s79, v20
	v_cndmask_b32_e32 v20, v20, v24, vcc
	v_subrev_u32_e32 v24, s79, v20
	v_cmp_le_u32_e32 vcc, s79, v20
	v_cndmask_b32_e32 v20, v20, v24, vcc
	v_xor_b32_e32 v20, v20, v21
	v_sub_u32_e32 v32, v20, v21
	v_add_u32_e32 v20, v32, v80
	v_ashrrev_i32_e32 v21, 31, v20
	v_lshlrev_b64 v[20:21], 3, v[20:21]
	v_add3_u32 v24, v22, s40, v82
	v_add_co_u32_e32 v20, vcc, s12, v20
	v_ashrrev_i32_e32 v25, 31, v24
	v_addc_co_u32_e32 v21, vcc, v60, v21, vcc
	v_lshlrev_b64 v[24:25], 3, v[24:25]
	v_add3_u32 v26, v22, s42, v83
	v_add_co_u32_e32 v24, vcc, s12, v24
	v_ashrrev_i32_e32 v27, 31, v26
	v_addc_co_u32_e32 v25, vcc, v60, v25, vcc
	;; [unrolled: 5-line block ×3, first 2 shown]
	v_lshlrev_b64 v[28:29], 3, v[28:29]
	v_add_co_u32_e32 v28, vcc, s12, v28
	global_load_dwordx2 v[18:19], v[58:59], off
	v_addc_co_u32_e32 v29, vcc, v60, v29, vcc
	global_load_dwordx2 v[42:43], v[20:21], off
	global_load_dwordx2 v[36:37], v[24:25], off
	;; [unrolled: 1-line block ×3, first 2 shown]
	s_nop 0
	global_load_dwordx2 v[24:25], v[28:29], off
	v_add3_u32 v20, v32, s46, v84
	v_ashrrev_i32_e32 v21, 31, v20
	v_lshlrev_b64 v[20:21], 3, v[20:21]
	v_add3_u32 v26, v32, s48, v83
	v_add_co_u32_e32 v20, vcc, s12, v20
	v_ashrrev_i32_e32 v27, 31, v26
	v_addc_co_u32_e32 v21, vcc, v60, v21, vcc
	v_lshlrev_b64 v[26:27], 3, v[26:27]
	v_add3_u32 v28, v32, s50, v85
	v_add_co_u32_e32 v26, vcc, s12, v26
	v_ashrrev_i32_e32 v29, 31, v28
	v_addc_co_u32_e32 v27, vcc, v60, v27, vcc
	v_lshlrev_b64 v[28:29], 3, v[28:29]
	v_add_u32_e32 v32, v86, v22
	v_add_co_u32_e32 v28, vcc, s12, v28
	v_ashrrev_i32_e32 v33, 31, v32
	v_addc_co_u32_e32 v29, vcc, v60, v29, vcc
	v_lshlrev_b64 v[32:33], 3, v[32:33]
	v_add_co_u32_e32 v34, vcc, s12, v32
	v_addc_co_u32_e32 v35, vcc, v60, v33, vcc
	global_load_dwordx2 v[38:39], v[20:21], off
	global_load_dwordx2 v[32:33], v[26:27], off
	s_nop 0
	global_load_dwordx2 v[28:29], v[28:29], off
	s_nop 0
	global_load_dwordx2 v[20:21], v[34:35], off
	v_add_u32_e32 v26, v87, v22
	v_add_u32_e32 v34, -1, v23
	v_sub_u32_e32 v23, 1, v23
	v_ashrrev_i32_e32 v27, 31, v26
	v_max_i32_e32 v23, v34, v23
	v_lshlrev_b64 v[26:27], 3, v[26:27]
	v_ashrrev_i32_e32 v35, 31, v34
	v_mul_hi_u32 v34, v23, v69
	v_add_co_u32_e32 v26, vcc, s12, v26
	v_mul_lo_u32 v34, v34, s79
	v_addc_co_u32_e32 v27, vcc, v60, v27, vcc
	v_sub_u32_e32 v23, v23, v34
	v_subrev_u32_e32 v34, s79, v23
	v_cmp_le_u32_e32 vcc, s79, v23
	v_cndmask_b32_e32 v23, v23, v34, vcc
	v_subrev_u32_e32 v34, s79, v23
	v_cmp_le_u32_e32 vcc, s79, v23
	v_cndmask_b32_e32 v23, v23, v34, vcc
	v_xor_b32_e32 v23, v23, v35
	v_sub_u32_e32 v23, v23, v35
	v_add_u32_e32 v34, v23, v81
	v_ashrrev_i32_e32 v35, 31, v34
	v_lshlrev_b64 v[34:35], 3, v[34:35]
	v_add3_u32 v40, v22, s52, v84
	v_add_co_u32_e32 v34, vcc, s12, v34
	v_ashrrev_i32_e32 v41, 31, v40
	v_addc_co_u32_e32 v35, vcc, v60, v35, vcc
	v_lshlrev_b64 v[40:41], 3, v[40:41]
	v_add_co_u32_e32 v44, vcc, s12, v40
	v_add3_u32 v40, v22, s54, v85
	v_addc_co_u32_e32 v45, vcc, v60, v41, vcc
	v_ashrrev_i32_e32 v41, 31, v40
	v_lshlrev_b64 v[40:41], 3, v[40:41]
	v_add_co_u32_e32 v48, vcc, s12, v40
	v_addc_co_u32_e32 v49, vcc, v60, v41, vcc
	global_load_dwordx2 v[46:47], v[26:27], off
	global_load_dwordx2 v[40:41], v[34:35], off
	s_nop 0
	global_load_dwordx2 v[34:35], v[44:45], off
	global_load_dwordx2 v[50:51], v[48:49], off
	v_add_u32_e32 v26, v23, v88
	v_ashrrev_i32_e32 v27, 31, v26
	v_lshlrev_b64 v[26:27], 3, v[26:27]
	v_add_u32_e32 v44, v23, v89
	v_add_co_u32_e32 v26, vcc, s12, v26
	v_ashrrev_i32_e32 v45, 31, v44
	v_addc_co_u32_e32 v27, vcc, v60, v27, vcc
	v_lshlrev_b64 v[44:45], 3, v[44:45]
	v_add_co_u32_e32 v48, vcc, s12, v44
	v_add_u32_e32 v44, v23, v90
	v_addc_co_u32_e32 v49, vcc, v60, v45, vcc
	v_ashrrev_i32_e32 v45, 31, v44
	v_lshlrev_b64 v[44:45], 3, v[44:45]
	v_add_co_u32_e32 v52, vcc, s12, v44
	v_add_u32_e32 v44, v23, v91
	v_addc_co_u32_e32 v53, vcc, v60, v45, vcc
	v_ashrrev_i32_e32 v45, 31, v44
	v_lshlrev_b64 v[44:45], 3, v[44:45]
	v_add_co_u32_e32 v54, vcc, s12, v44
	v_addc_co_u32_e32 v55, vcc, v60, v45, vcc
	global_load_dwordx2 v[44:45], v[26:27], off
	global_load_dwordx2 v[56:57], v[48:49], off
	s_nop 0
	global_load_dwordx2 v[48:49], v[52:53], off
	global_load_dwordx2 v[26:27], v[54:55], off
	v_add_u32_e32 v52, v92, v22
	v_ashrrev_i32_e32 v53, 31, v52
	v_lshlrev_b64 v[52:53], 3, v[52:53]
	v_add_u32_e32 v22, v93, v22
	v_add_co_u32_e32 v52, vcc, s12, v52
	v_ashrrev_i32_e32 v23, 31, v22
	v_addc_co_u32_e32 v53, vcc, v60, v53, vcc
	v_lshlrev_b64 v[22:23], 3, v[22:23]
	v_add_co_u32_e32 v22, vcc, s12, v22
	v_addc_co_u32_e32 v23, vcc, v60, v23, vcc
	global_load_dwordx2 v[52:53], v[52:53], off
	s_nop 0
	global_load_dwordx2 v[22:23], v[22:23], off
	v_and_b32_sdwa v54, sext(v95), v70 dst_sel:DWORD dst_unused:UNUSED_PAD src0_sel:BYTE_0 src1_sel:DWORD
	v_cmp_eq_u16_e32 vcc, 2, v54
	v_lshlrev_b64 v[54:55], 2, v[14:15]
	s_and_saveexec_b64 s[4:5], vcc
	s_cbranch_execz .LBB3_55
; %bb.18:                               ;   in Loop: Header=BB3_12 Depth=3
	v_mov_b32_e32 v15, s19
	v_add_co_u32_e32 v60, vcc, s18, v54
	v_addc_co_u32_e32 v61, vcc, v15, v55, vcc
	global_load_dword v15, v[60:61], off
	s_waitcnt vmcnt(0)
	v_and_b32_e32 v60, 2, v15
	v_cmp_ne_u32_e32 vcc, 0, v60
	s_and_saveexec_b64 s[0:1], vcc
	s_cbranch_execz .LBB3_20
; %bb.19:                               ;   in Loop: Header=BB3_12 Depth=3
	v_mov_b32_e32 v43, s21
	v_add_co_u32_e32 v42, vcc, s20, v58
	v_addc_co_u32_e32 v43, vcc, v59, v43, vcc
	global_load_dwordx2 v[42:43], v[42:43], off
.LBB3_20:                               ;   in Loop: Header=BB3_12 Depth=3
	s_or_b64 exec, exec, s[0:1]
	v_and_b32_e32 v60, 4, v15
	v_cmp_ne_u32_e32 vcc, 0, v60
	s_and_saveexec_b64 s[0:1], vcc
	s_cbranch_execz .LBB3_22
; %bb.21:                               ;   in Loop: Header=BB3_12 Depth=3
	s_lshl_b64 s[6:7], s[52:53], 3
	v_mov_b32_e32 v37, s7
	v_add_co_u32_e32 v36, vcc, s6, v58
	v_addc_co_u32_e32 v37, vcc, v59, v37, vcc
	global_load_dwordx2 v[36:37], v[36:37], off
.LBB3_22:                               ;   in Loop: Header=BB3_12 Depth=3
	s_or_b64 exec, exec, s[0:1]
	v_and_b32_e32 v60, 8, v15
	v_cmp_ne_u32_e32 vcc, 0, v60
	s_and_saveexec_b64 s[0:1], vcc
	s_cbranch_execz .LBB3_24
; %bb.23:                               ;   in Loop: Header=BB3_12 Depth=3
	s_lshl_b64 s[6:7], s[54:55], 3
	v_mov_b32_e32 v31, s7
	v_add_co_u32_e32 v30, vcc, s6, v58
	v_addc_co_u32_e32 v31, vcc, v59, v31, vcc
	global_load_dwordx2 v[30:31], v[30:31], off
.LBB3_24:                               ;   in Loop: Header=BB3_12 Depth=3
	s_or_b64 exec, exec, s[0:1]
	v_and_b32_e32 v60, 16, v15
	v_cmp_ne_u32_e32 vcc, 0, v60
	s_and_saveexec_b64 s[0:1], vcc
	s_cbranch_execz .LBB3_26
; %bb.25:                               ;   in Loop: Header=BB3_12 Depth=3
	v_mov_b32_e32 v25, s57
	v_add_co_u32_e32 v24, vcc, s56, v58
	v_addc_co_u32_e32 v25, vcc, v59, v25, vcc
	global_load_dwordx2 v[24:25], v[24:25], off
.LBB3_26:                               ;   in Loop: Header=BB3_12 Depth=3
	s_or_b64 exec, exec, s[0:1]
	v_and_b32_e32 v60, 32, v15
	v_cmp_ne_u32_e32 vcc, 0, v60
	s_and_saveexec_b64 s[0:1], vcc
	s_cbranch_execz .LBB3_28
; %bb.27:                               ;   in Loop: Header=BB3_12 Depth=3
	v_mov_b32_e32 v39, s59
	v_add_co_u32_e32 v38, vcc, s58, v58
	v_addc_co_u32_e32 v39, vcc, v59, v39, vcc
	global_load_dwordx2 v[38:39], v[38:39], off
.LBB3_28:                               ;   in Loop: Header=BB3_12 Depth=3
	;; [unrolled: 11-line block ×7, first 2 shown]
	s_or_b64 exec, exec, s[0:1]
	v_and_b32_e32 v60, 0x800, v15
	v_cmp_ne_u32_e32 vcc, 0, v60
	s_and_saveexec_b64 s[0:1], vcc
	s_cbranch_execz .LBB3_40
; %bb.39:                               ;   in Loop: Header=BB3_12 Depth=3
	s_lshl_b64 s[6:7], s[40:41], 3
	v_mov_b32_e32 v35, s7
	v_add_co_u32_e32 v34, vcc, s6, v58
	v_addc_co_u32_e32 v35, vcc, v59, v35, vcc
	global_load_dwordx2 v[34:35], v[34:35], off
.LBB3_40:                               ;   in Loop: Header=BB3_12 Depth=3
	s_or_b64 exec, exec, s[0:1]
	v_and_b32_e32 v60, 0x1000, v15
	v_cmp_ne_u32_e32 vcc, 0, v60
	s_and_saveexec_b64 s[0:1], vcc
	s_cbranch_execz .LBB3_42
; %bb.41:                               ;   in Loop: Header=BB3_12 Depth=3
	s_lshl_b64 s[6:7], s[42:43], 3
	v_mov_b32_e32 v51, s7
	v_add_co_u32_e32 v50, vcc, s6, v58
	v_addc_co_u32_e32 v51, vcc, v59, v51, vcc
	global_load_dwordx2 v[50:51], v[50:51], off
.LBB3_42:                               ;   in Loop: Header=BB3_12 Depth=3
	;; [unrolled: 12-line block ×6, first 2 shown]
	s_or_b64 exec, exec, s[0:1]
	v_and_b32_e32 v60, 0x20000, v15
	v_cmp_ne_u32_e32 vcc, 0, v60
	s_and_saveexec_b64 s[0:1], vcc
	s_cbranch_execz .LBB3_52
; %bb.51:                               ;   in Loop: Header=BB3_12 Depth=3
	v_mov_b32_e32 v53, s71
	v_add_co_u32_e32 v52, vcc, s70, v58
	v_addc_co_u32_e32 v53, vcc, v59, v53, vcc
	global_load_dwordx2 v[52:53], v[52:53], off
.LBB3_52:                               ;   in Loop: Header=BB3_12 Depth=3
	s_or_b64 exec, exec, s[0:1]
	v_and_b32_e32 v15, 0x40000, v15
	v_cmp_ne_u32_e32 vcc, 0, v15
	s_and_saveexec_b64 s[0:1], vcc
	s_cbranch_execz .LBB3_54
; %bb.53:                               ;   in Loop: Header=BB3_12 Depth=3
	v_mov_b32_e32 v15, s73
	v_add_co_u32_e32 v22, vcc, s72, v58
	v_addc_co_u32_e32 v23, vcc, v59, v15, vcc
	global_load_dwordx2 v[22:23], v[22:23], off
.LBB3_54:                               ;   in Loop: Header=BB3_12 Depth=3
	s_or_b64 exec, exec, s[0:1]
.LBB3_55:                               ;   in Loop: Header=BB3_12 Depth=3
	s_or_b64 exec, exec, s[4:5]
	v_cmp_eq_u16_sdwa s[0:1], sext(v95), v71 src0_sel:BYTE_0 src1_sel:DWORD
	s_and_saveexec_b64 s[88:89], s[0:1]
	s_cbranch_execz .LBB3_76
; %bb.56:                               ;   in Loop: Header=BB3_12 Depth=3
	s_waitcnt vmcnt(19)
	v_and_b32_e32 v15, 0xff, v96
	v_cmp_lt_i16_e32 vcc, 2, v15
	s_mov_b64 s[0:1], 0
	s_and_saveexec_b64 s[4:5], vcc
	s_xor_b64 s[4:5], exec, s[4:5]
	s_cbranch_execnz .LBB3_80
; %bb.57:                               ;   in Loop: Header=BB3_12 Depth=3
	s_or_saveexec_b64 s[6:7], s[4:5]
	v_cmp_eq_u16_e32 vcc, 1, v15
	s_xor_b64 exec, exec, s[6:7]
	s_cbranch_execnz .LBB3_81
.LBB3_58:                               ;   in Loop: Header=BB3_12 Depth=3
	s_or_b64 exec, exec, s[6:7]
	s_and_saveexec_b64 s[4:5], s[0:1]
	s_cbranch_execz .LBB3_60
.LBB3_59:                               ;   in Loop: Header=BB3_12 Depth=3
	s_waitcnt vmcnt(0)
	v_add_f64 v[24:25], v[2:3], v[24:25]
.LBB3_60:                               ;   in Loop: Header=BB3_12 Depth=3
	s_or_b64 exec, exec, s[4:5]
	v_cmp_lt_i16_e64 s[4:5], 3, v15
	s_mov_b64 s[6:7], 0
	s_mov_b64 s[0:1], 0
	s_and_saveexec_b64 s[10:11], s[4:5]
	s_xor_b64 s[10:11], exec, s[10:11]
	s_cbranch_execnz .LBB3_84
; %bb.61:                               ;   in Loop: Header=BB3_12 Depth=3
	s_andn2_saveexec_b64 s[4:5], s[10:11]
	s_cbranch_execnz .LBB3_87
.LBB3_62:                               ;   in Loop: Header=BB3_12 Depth=3
	s_or_b64 exec, exec, s[4:5]
	s_and_saveexec_b64 s[4:5], s[6:7]
	s_cbranch_execnz .LBB3_88
.LBB3_63:                               ;   in Loop: Header=BB3_12 Depth=3
	s_or_b64 exec, exec, s[4:5]
	s_and_saveexec_b64 s[4:5], s[0:1]
	s_cbranch_execz .LBB3_65
.LBB3_64:                               ;   in Loop: Header=BB3_12 Depth=3
	s_waitcnt vmcnt(0)
	v_add_f64 v[28:29], v[2:3], v[28:29]
.LBB3_65:                               ;   in Loop: Header=BB3_12 Depth=3
	s_or_b64 exec, exec, s[4:5]
	v_add_u16_e32 v60, -3, v96
	s_waitcnt vmcnt(0)
	v_add_f64 v[58:59], v[46:47], 0
	v_cmp_lt_u16_sdwa vcc, v60, v71 src0_sel:BYTE_0 src1_sel:DWORD
	v_add_u16_e32 v60, -1, v96
	v_cndmask_b32_e32 v47, v47, v59, vcc
	v_cndmask_b32_e32 v46, v46, v58, vcc
	v_add_f64 v[58:59], v[2:3], v[38:39]
	v_cmp_lt_u16_sdwa vcc, v60, v71 src0_sel:BYTE_0 src1_sel:DWORD
	v_cndmask_b32_e32 v39, v39, v59, vcc
	v_cndmask_b32_e32 v38, v38, v58, vcc
	v_cmp_lt_i16_e32 vcc, 2, v15
	s_mov_b64 s[90:91], 0
	s_mov_b64 s[36:37], 0
	s_mov_b64 s[92:93], 0
	s_mov_b64 s[4:5], 0
                                        ; implicit-def: $vgpr58_vgpr59
                                        ; implicit-def: $vgpr60_vgpr61
                                        ; implicit-def: $vgpr62_vgpr63
	s_and_saveexec_b64 s[0:1], vcc
	s_xor_b64 s[10:11], exec, s[0:1]
	s_cbranch_execnz .LBB3_93
; %bb.66:                               ;   in Loop: Header=BB3_12 Depth=3
	s_or_saveexec_b64 s[10:11], s[10:11]
                                        ; implicit-def: $vgpr64_vgpr65
	s_xor_b64 exec, exec, s[10:11]
	s_cbranch_execnz .LBB3_100
.LBB3_67:                               ;   in Loop: Header=BB3_12 Depth=3
	s_or_b64 exec, exec, s[10:11]
	s_and_saveexec_b64 s[0:1], s[36:37]
.LBB3_68:                               ;   in Loop: Header=BB3_12 Depth=3
	v_cmp_eq_u16_sdwa s[6:7], v96, v75 src0_sel:BYTE_0 src1_sel:DWORD
	v_add_f64 v[60:61], v[8:9], v[56:57]
	s_andn2_b64 s[10:11], s[92:93], exec
	s_and_b64 s[6:7], s[6:7], exec
	s_or_b64 s[92:93], s[10:11], s[6:7]
	v_pk_mov_b32 v[58:59], v[52:53], v[52:53] op_sel:[0,1]
	v_pk_mov_b32 v[56:57], v[60:61], v[60:61] op_sel:[0,1]
	v_pk_mov_b32 v[62:63], v[50:51], v[50:51] op_sel:[0,1]
                                        ; implicit-def: $vgpr64_vgpr65
.LBB3_69:                               ;   in Loop: Header=BB3_12 Depth=3
	s_or_b64 exec, exec, s[0:1]
	s_mov_b64 s[10:11], 0
	s_mov_b64 s[94:95], 0
	s_and_saveexec_b64 s[0:1], s[92:93]
	s_cbranch_execnz .LBB3_113
; %bb.70:                               ;   in Loop: Header=BB3_12 Depth=3
	s_or_b64 exec, exec, s[0:1]
	s_and_saveexec_b64 s[0:1], s[90:91]
	s_cbranch_execnz .LBB3_116
.LBB3_71:                               ;   in Loop: Header=BB3_12 Depth=3
	s_or_b64 exec, exec, s[0:1]
	s_and_saveexec_b64 s[0:1], s[94:95]
	s_cbranch_execnz .LBB3_117
.LBB3_72:                               ;   in Loop: Header=BB3_12 Depth=3
	s_or_b64 exec, exec, s[0:1]
	s_and_saveexec_b64 s[0:1], s[4:5]
	s_cbranch_execnz .LBB3_118
.LBB3_73:                               ;   in Loop: Header=BB3_12 Depth=3
	s_or_b64 exec, exec, s[0:1]
	s_and_saveexec_b64 s[0:1], s[10:11]
.LBB3_74:                               ;   in Loop: Header=BB3_12 Depth=3
	v_add_f64 v[22:23], v[22:23], 0
	v_pk_mov_b32 v[60:61], v[64:65], v[64:65] op_sel:[0,1]
.LBB3_75:                               ;   in Loop: Header=BB3_12 Depth=3
	s_or_b64 exec, exec, s[0:1]
	v_pk_mov_b32 v[52:53], v[58:59], v[58:59] op_sel:[0,1]
	v_pk_mov_b32 v[56:57], v[60:61], v[60:61] op_sel:[0,1]
.LBB3_76:                               ;   in Loop: Header=BB3_12 Depth=3
	s_or_b64 exec, exec, s[88:89]
	s_waitcnt vmcnt(0)
	v_add_f64 v[58:59], v[42:43], v[24:25]
	v_add_f64 v[58:59], v[58:59], v[38:39]
	;; [unrolled: 1-line block ×18, first 2 shown]
	v_div_scale_f64 v[102:103], s[0:1], v[58:59], v[58:59], 1.0
	v_rcp_f64_e32 v[104:105], v[102:103]
	v_add_f64 v[64:65], v[24:25], v[36:37]
	v_add_f64 v[96:97], v[38:39], v[34:35]
	v_add_f64 v[98:99], v[32:33], v[30:31]
	v_fma_f64 v[106:107], -v[102:103], v[104:105], 1.0
	v_fmac_f64_e32 v[104:105], v[104:105], v[106:107]
	v_fma_f64 v[106:107], -v[102:103], v[104:105], 1.0
	v_fmac_f64_e32 v[104:105], v[104:105], v[106:107]
	v_div_scale_f64 v[106:107], vcc, 1.0, v[58:59], 1.0
	v_mul_f64 v[108:109], v[106:107], v[104:105]
	v_add_f64 v[100:101], v[28:29], v[46:47]
	v_fma_f64 v[102:103], -v[102:103], v[108:109], v[106:107]
	v_add_f64 v[64:65], v[64:65], v[20:21]
	v_add_f64 v[96:97], v[44:45], v[96:97]
	;; [unrolled: 1-line block ×4, first 2 shown]
	v_div_fmas_f64 v[102:103], v[102:103], v[104:105], v[108:109]
	v_add_f64 v[64:65], v[64:65], v[46:47]
	v_add_f64 v[96:97], v[96:97], v[52:53]
	;; [unrolled: 1-line block ×4, first 2 shown]
	v_div_fixup_f64 v[102:103], v[102:103], v[58:59], 1.0
	v_add_f64 v[60:61], v[62:63], -v[60:61]
	v_add_f64 v[64:65], v[56:57], v[64:65]
	v_add_f64 v[96:97], v[96:97], v[22:23]
	;; [unrolled: 1-line block ×4, first 2 shown]
	v_mul_f64 v[60:61], v[60:61], v[102:103]
	v_cvt_f32_f64_e32 v15, v[60:61]
	v_add_f64 v[60:61], v[96:97], -v[64:65]
	v_add_f64 v[62:63], v[100:101], -v[98:99]
	v_mul_f64 v[60:61], v[60:61], v[102:103]
	v_mul_f64 v[62:63], v[62:63], v[102:103]
	v_cvt_f32_f64_e32 v60, v[60:61]
	v_cvt_f32_f64_e32 v61, v[62:63]
	v_cmp_lt_i16_sdwa s[4:5], sext(v95), v73 src0_sel:BYTE_0 src1_sel:DWORD
	s_and_saveexec_b64 s[10:11], s[4:5]
	s_cbranch_execz .LBB3_78
; %bb.77:                               ;   in Loop: Header=BB3_12 Depth=3
	v_div_scale_f64 v[62:63], s[0:1], s[74:75], s[74:75], v[58:59]
	v_rcp_f64_e32 v[64:65], v[62:63]
	v_mul_f32_e32 v95, v60, v60
	v_fmac_f32_e32 v95, v15, v15
	v_fmac_f32_e32 v95, v61, v61
	v_mul_f32_e32 v95, 0x40400000, v95
	v_fma_f64 v[98:99], -v[62:63], v[64:65], 1.0
	v_cvt_f64_f32_e32 v[96:97], v95
	v_fmac_f64_e32 v[64:65], v[64:65], v[98:99]
	v_mul_f32_e32 v95, 0xc0400000, v15
	v_fma_f64 v[98:99], -v[62:63], v[64:65], 1.0
	v_mul_f32_e32 v95, v95, v95
	v_fmac_f64_e32 v[64:65], v[64:65], v[98:99]
	v_div_scale_f64 v[98:99], vcc, v[58:59], s[74:75], v[58:59]
	v_cvt_f64_f32_e32 v[102:103], v95
	v_mul_f32_e32 v95, 0xc0400000, v60
	v_mul_f64 v[100:101], v[98:99], v[64:65]
	v_mul_f32_e32 v95, v95, v95
	v_fma_f64 v[62:63], -v[62:63], v[100:101], v[98:99]
	v_cvt_f64_f32_e32 v[106:107], v95
	v_mul_f32_e32 v95, 0xc0400000, v61
	v_div_fmas_f64 v[62:63], v[62:63], v[64:65], v[100:101]
	v_fma_f32 v100, v15, s78, 1.0
	v_fma_f32 v104, v60, s78, 1.0
	;; [unrolled: 1-line block ×3, first 2 shown]
	v_mul_f32_e32 v95, v95, v95
	v_cvt_f64_f32_e32 v[100:101], v100
	v_cvt_f64_f32_e32 v[104:105], v104
	;; [unrolled: 1-line block ×4, first 2 shown]
	v_div_fixup_f64 v[58:59], v[62:63], s[74:75], v[58:59]
	v_fmac_f64_e32 v[100:101], 0.5, v[102:103]
	v_fmac_f64_e32 v[104:105], 0.5, v[106:107]
	;; [unrolled: 1-line block ×3, first 2 shown]
	v_add_f64 v[98:99], v[58:59], v[58:59]
	v_fmac_f64_e32 v[100:101], -0.5, v[96:97]
	v_fmac_f64_e32 v[104:105], -0.5, v[96:97]
	;; [unrolled: 1-line block ×3, first 2 shown]
	v_sub_f32_e64 v95, -v15, v60
	v_mul_f64 v[62:63], v[58:59], s[76:77]
	v_fma_f64 v[64:65], v[96:97], -0.5, 1.0
	v_mul_f64 v[100:101], v[98:99], v[100:101]
	v_cvt_f64_f32_e32 v[102:103], v15
	v_mul_f64 v[104:105], v[98:99], v[104:105]
	v_cvt_f64_f32_e32 v[106:107], v60
	;; [unrolled: 2-line block ×3, first 2 shown]
	v_mul_f32_e32 v95, 0x40400000, v95
	v_mul_f64 v[64:65], v[62:63], v[64:65]
	v_fma_f64 v[102:103], v[62:63], v[102:103], v[100:101]
	v_fma_f64 v[106:107], v[62:63], v[106:107], v[104:105]
	;; [unrolled: 1-line block ×3, first 2 shown]
	v_cvt_f64_f32_e32 v[110:111], v95
	v_sub_f32_e32 v95, v60, v15
	v_add_f64 v[112:113], v[110:111], 1.0
	v_mul_f64 v[114:115], v[110:111], v[110:111]
	v_mul_f32_e32 v95, 0x40400000, v95
	v_fmac_f64_e32 v[112:113], 0.5, v[114:115]
	v_cvt_f64_f32_e32 v[114:115], v95
	v_sub_f32_e64 v95, -v15, v61
	v_add_f64 v[116:117], v[114:115], 1.0
	v_mul_f64 v[118:119], v[114:115], v[114:115]
	v_mul_f32_e32 v95, 0x40400000, v95
	v_fmac_f64_e32 v[116:117], 0.5, v[118:119]
	v_cvt_f64_f32_e32 v[118:119], v95
	v_sub_f32_e32 v95, v61, v15
	v_add_f64 v[120:121], v[118:119], 1.0
	v_mul_f64 v[122:123], v[118:119], v[118:119]
	v_mul_f32_e32 v95, 0x40400000, v95
	v_fmac_f64_e32 v[120:121], 0.5, v[122:123]
	v_cvt_f64_f32_e32 v[122:123], v95
	v_sub_f32_e64 v95, -v60, v61
	v_add_f64 v[124:125], v[122:123], 1.0
	v_mul_f64 v[126:127], v[122:123], v[122:123]
	v_mul_f32_e32 v95, 0x40400000, v95
	v_fmac_f64_e32 v[124:125], 0.5, v[126:127]
	v_cvt_f64_f32_e32 v[126:127], v95
	v_sub_f32_e32 v95, v61, v60
	v_add_f64 v[128:129], v[126:127], 1.0
	v_mul_f64 v[130:131], v[126:127], v[126:127]
	v_mul_f32_e32 v95, 0x40400000, v95
	v_fmac_f64_e32 v[128:129], 0.5, v[130:131]
	v_cvt_f64_f32_e32 v[130:131], v95
	v_add_f64 v[132:133], v[130:131], 1.0
	v_mul_f64 v[134:135], v[130:131], v[130:131]
	v_fmac_f64_e32 v[132:133], 0.5, v[134:135]
	v_fmac_f64_e32 v[112:113], -0.5, v[96:97]
	v_fmac_f64_e32 v[116:117], -0.5, v[96:97]
	;; [unrolled: 1-line block ×6, first 2 shown]
	v_mul_f64 v[112:113], v[58:59], v[112:113]
	v_mul_f64 v[116:117], v[58:59], v[116:117]
	;; [unrolled: 1-line block ×6, first 2 shown]
	v_fma_f64 v[110:111], -v[98:99], v[110:111], v[112:113]
	v_fma_f64 v[114:115], -v[98:99], v[114:115], v[116:117]
	;; [unrolled: 1-line block ×6, first 2 shown]
	v_mul_f64 v[64:65], v[64:65], s[22:23]
	v_mul_f64 v[98:99], v[100:101], s[22:23]
	;; [unrolled: 1-line block ×19, first 2 shown]
	v_fmac_f64_e32 v[64:65], v[10:11], v[18:19]
	v_fmac_f64_e32 v[98:99], v[10:11], v[42:43]
	;; [unrolled: 1-line block ×19, first 2 shown]
	v_pk_mov_b32 v[18:19], v[64:65], v[64:65] op_sel:[0,1]
	v_pk_mov_b32 v[42:43], v[98:99], v[98:99] op_sel:[0,1]
	;; [unrolled: 1-line block ×19, first 2 shown]
.LBB3_78:                               ;   in Loop: Header=BB3_12 Depth=3
	s_or_b64 exec, exec, s[10:11]
	s_and_b64 s[4:5], s[4:5], s[28:29]
	s_and_saveexec_b64 s[0:1], s[4:5]
	s_cbranch_execz .LBB3_10
; %bb.79:                               ;   in Loop: Header=BB3_12 Depth=3
	v_mov_b32_e32 v59, s35
	v_add_co_u32_e32 v58, vcc, s34, v54
	v_addc_co_u32_e32 v59, vcc, v59, v55, vcc
	v_mov_b32_e32 v63, s27
	v_add_co_u32_e32 v62, vcc, s26, v54
	v_addc_co_u32_e32 v63, vcc, v63, v55, vcc
	;; [unrolled: 3-line block ×3, first 2 shown]
	global_store_dword v[54:55], v15, off
	global_store_dword v[62:63], v60, off
	;; [unrolled: 1-line block ×3, first 2 shown]
	s_branch .LBB3_10
.LBB3_80:                               ;   in Loop: Header=BB3_12 Depth=3
	v_cmp_eq_u16_e32 vcc, 3, v15
	s_and_b64 s[0:1], vcc, exec
	s_or_saveexec_b64 s[6:7], s[4:5]
	v_cmp_eq_u16_e32 vcc, 1, v15
	s_xor_b64 exec, exec, s[6:7]
	s_cbranch_execz .LBB3_58
.LBB3_81:                               ;   in Loop: Header=BB3_12 Depth=3
	v_cmp_eq_u16_e64 s[4:5], 1, v15
	s_mov_b64 s[10:11], s[0:1]
	s_and_saveexec_b64 s[36:37], s[4:5]
	s_cbranch_execz .LBB3_83
; %bb.82:                               ;   in Loop: Header=BB3_12 Depth=3
	s_waitcnt vmcnt(0)
	v_add_f64 v[42:43], v[0:1], v[42:43]
	s_or_b64 s[10:11], s[0:1], exec
.LBB3_83:                               ;   in Loop: Header=BB3_12 Depth=3
	s_or_b64 exec, exec, s[36:37]
	s_andn2_b64 s[0:1], s[0:1], exec
	s_and_b64 s[4:5], s[10:11], exec
	s_or_b64 s[0:1], s[0:1], s[4:5]
	s_or_b64 exec, exec, s[6:7]
	s_and_saveexec_b64 s[4:5], s[0:1]
	s_cbranch_execnz .LBB3_59
	s_branch .LBB3_60
.LBB3_84:                               ;   in Loop: Header=BB3_12 Depth=3
	v_cmp_lt_i16_e64 s[4:5], 4, v15
	s_mov_b64 s[0:1], -1
	s_and_saveexec_b64 s[36:37], s[4:5]
; %bb.85:                               ;   in Loop: Header=BB3_12 Depth=3
	v_cmp_eq_u16_e64 s[4:5], 5, v15
	s_xor_b64 s[0:1], exec, -1
	s_and_b64 s[6:7], s[4:5], exec
; %bb.86:                               ;   in Loop: Header=BB3_12 Depth=3
	s_or_b64 exec, exec, s[36:37]
	s_and_b64 s[0:1], s[0:1], exec
	s_and_b64 s[6:7], s[6:7], exec
	s_andn2_saveexec_b64 s[4:5], s[10:11]
	s_cbranch_execz .LBB3_62
.LBB3_87:                               ;   in Loop: Header=BB3_12 Depth=3
	s_andn2_b64 s[6:7], s[6:7], exec
	s_and_b64 s[10:11], vcc, exec
	s_or_b64 s[6:7], s[6:7], s[10:11]
	s_or_b64 exec, exec, s[4:5]
	s_and_saveexec_b64 s[4:5], s[6:7]
	s_cbranch_execz .LBB3_63
.LBB3_88:                               ;   in Loop: Header=BB3_12 Depth=3
	s_waitcnt vmcnt(0)
	v_add_f64 v[32:33], v[2:3], v[32:33]
	v_cmp_gt_i16_sdwa s[10:11], v96, v72 src0_sel:BYTE_0 src1_sel:DWORD
	s_mov_b64 s[6:7], s[0:1]
	s_and_saveexec_b64 s[36:37], s[10:11]
	s_xor_b64 s[10:11], exec, s[36:37]
; %bb.89:                               ;   in Loop: Header=BB3_12 Depth=3
	v_cmp_eq_u16_sdwa s[6:7], v96, v73 src0_sel:BYTE_0 src1_sel:DWORD
	s_andn2_b64 s[36:37], s[0:1], exec
	s_and_b64 s[6:7], s[6:7], exec
	s_or_b64 s[6:7], s[36:37], s[6:7]
; %bb.90:                               ;   in Loop: Header=BB3_12 Depth=3
	s_andn2_saveexec_b64 s[10:11], s[10:11]
; %bb.91:                               ;   in Loop: Header=BB3_12 Depth=3
	v_cmp_eq_u16_sdwa s[36:37], v96, v74 src0_sel:BYTE_0 src1_sel:DWORD
	s_andn2_b64 s[6:7], s[6:7], exec
	s_and_b64 s[36:37], s[36:37], exec
	s_or_b64 s[6:7], s[6:7], s[36:37]
; %bb.92:                               ;   in Loop: Header=BB3_12 Depth=3
	s_or_b64 exec, exec, s[10:11]
	s_andn2_b64 s[0:1], s[0:1], exec
	s_and_b64 s[6:7], s[6:7], exec
	s_or_b64 s[0:1], s[0:1], s[6:7]
	s_or_b64 exec, exec, s[4:5]
	s_and_saveexec_b64 s[4:5], s[0:1]
	s_cbranch_execnz .LBB3_64
	s_branch .LBB3_65
.LBB3_93:                               ;   in Loop: Header=BB3_12 Depth=3
	v_cmp_lt_i16_e32 vcc, 3, v15
	s_mov_b64 s[94:95], -1
	s_mov_b64 s[6:7], 0
                                        ; implicit-def: $vgpr58_vgpr59
                                        ; implicit-def: $vgpr60_vgpr61
                                        ; implicit-def: $vgpr62_vgpr63
	s_and_saveexec_b64 s[0:1], vcc
	s_cbranch_execz .LBB3_99
; %bb.94:                               ;   in Loop: Header=BB3_12 Depth=3
	v_cmp_lt_i16_e32 vcc, 4, v15
	s_and_saveexec_b64 s[6:7], vcc
	s_xor_b64 s[6:7], exec, s[6:7]
; %bb.95:                               ;   in Loop: Header=BB3_12 Depth=3
	v_cmp_eq_u16_e32 vcc, 5, v15
	s_and_b64 s[92:93], vcc, exec
; %bb.96:                               ;   in Loop: Header=BB3_12 Depth=3
	s_or_saveexec_b64 s[6:7], s[6:7]
                                        ; implicit-def: $vgpr62_vgpr63
	s_xor_b64 exec, exec, s[6:7]
; %bb.97:                               ;   in Loop: Header=BB3_12 Depth=3
	s_mov_b64 s[4:5], exec
	v_add_f64 v[62:63], v[50:51], 0
; %bb.98:                               ;   in Loop: Header=BB3_12 Depth=3
	s_or_b64 exec, exec, s[6:7]
	s_and_b64 s[6:7], s[92:93], exec
	s_and_b64 s[92:93], s[4:5], exec
	s_xor_b64 s[94:95], exec, -1
	v_pk_mov_b32 v[58:59], v[52:53], v[52:53] op_sel:[0,1]
	v_pk_mov_b32 v[60:61], v[56:57], v[56:57] op_sel:[0,1]
.LBB3_99:                               ;   in Loop: Header=BB3_12 Depth=3
	s_or_b64 exec, exec, s[0:1]
	s_and_b64 s[4:5], s[6:7], exec
	s_and_b64 s[92:93], s[92:93], exec
	;; [unrolled: 1-line block ×3, first 2 shown]
	s_or_saveexec_b64 s[10:11], s[10:11]
                                        ; implicit-def: $vgpr64_vgpr65
	s_xor_b64 exec, exec, s[10:11]
	s_cbranch_execz .LBB3_67
.LBB3_100:                              ;   in Loop: Header=BB3_12 Depth=3
	v_cmp_lt_i16_e32 vcc, 1, v15
	s_mov_b64 s[0:1], 0
	s_and_saveexec_b64 s[6:7], vcc
	s_xor_b64 s[6:7], exec, s[6:7]
; %bb.101:                              ;   in Loop: Header=BB3_12 Depth=3
	s_mov_b64 s[0:1], exec
	v_add_f64 v[34:35], v[34:35], 0
; %bb.102:                              ;   in Loop: Header=BB3_12 Depth=3
	s_andn2_saveexec_b64 s[90:91], s[6:7]
	s_cbranch_execz .LBB3_106
; %bb.103:                              ;   in Loop: Header=BB3_12 Depth=3
	v_cmp_eq_u16_e32 vcc, 0, v15
	s_mov_b64 s[94:95], s[0:1]
	s_and_saveexec_b64 s[6:7], vcc
; %bb.104:                              ;   in Loop: Header=BB3_12 Depth=3
	v_add_f64 v[40:41], v[4:5], v[40:41]
	s_or_b64 s[94:95], s[0:1], exec
; %bb.105:                              ;   in Loop: Header=BB3_12 Depth=3
	s_or_b64 exec, exec, s[6:7]
	s_andn2_b64 s[0:1], s[0:1], exec
	s_and_b64 s[6:7], s[94:95], exec
	s_or_b64 s[0:1], s[0:1], s[6:7]
.LBB3_106:                              ;   in Loop: Header=BB3_12 Depth=3
	s_or_b64 exec, exec, s[90:91]
	s_mov_b64 vcc, 0
	s_mov_b64 s[94:95], s[36:37]
                                        ; implicit-def: $vgpr64_vgpr65
	s_and_saveexec_b64 s[90:91], s[0:1]
	s_cbranch_execz .LBB3_112
; %bb.107:                              ;   in Loop: Header=BB3_12 Depth=3
	v_add_f64 v[44:45], v[6:7], v[44:45]
	v_cmp_gt_i16_sdwa s[6:7], v96, v74 src0_sel:BYTE_0 src1_sel:DWORD
	s_mov_b64 s[0:1], 0
	s_and_saveexec_b64 s[94:95], s[6:7]
	s_xor_b64 s[6:7], exec, s[94:95]
; %bb.108:                              ;   in Loop: Header=BB3_12 Depth=3
	v_cmp_eq_u16_sdwa s[0:1], v96, v71 src0_sel:BYTE_0 src1_sel:DWORD
	s_and_b64 s[0:1], s[0:1], exec
; %bb.109:                              ;   in Loop: Header=BB3_12 Depth=3
	s_or_saveexec_b64 s[94:95], s[6:7]
	s_mov_b64 s[6:7], s[36:37]
	s_xor_b64 exec, exec, s[94:95]
; %bb.110:                              ;   in Loop: Header=BB3_12 Depth=3
	v_cmp_eq_u16_sdwa s[6:7], v96, v75 src0_sel:BYTE_0 src1_sel:DWORD
	s_andn2_b64 vcc, s[36:37], exec
	s_and_b64 s[6:7], s[6:7], exec
	s_or_b64 s[6:7], vcc, s[6:7]
; %bb.111:                              ;   in Loop: Header=BB3_12 Depth=3
	s_or_b64 exec, exec, s[94:95]
	s_and_b64 vcc, s[0:1], exec
	s_andn2_b64 s[0:1], s[36:37], exec
	s_and_b64 s[6:7], s[6:7], exec
	s_or_b64 s[94:95], s[0:1], s[6:7]
	v_pk_mov_b32 v[64:65], v[56:57], v[56:57] op_sel:[0,1]
.LBB3_112:                              ;   in Loop: Header=BB3_12 Depth=3
	s_or_b64 exec, exec, s[90:91]
	s_andn2_b64 s[0:1], s[36:37], exec
	s_and_b64 s[6:7], s[94:95], exec
	s_and_b64 s[90:91], vcc, exec
	s_or_b64 s[36:37], s[0:1], s[6:7]
	v_pk_mov_b32 v[58:59], v[52:53], v[52:53] op_sel:[0,1]
	v_pk_mov_b32 v[60:61], v[56:57], v[56:57] op_sel:[0,1]
                                        ; implicit-def: $vgpr62_vgpr63
	s_or_b64 exec, exec, s[10:11]
	s_and_saveexec_b64 s[0:1], s[36:37]
	s_cbranch_execnz .LBB3_68
	s_branch .LBB3_69
.LBB3_113:                              ;   in Loop: Header=BB3_12 Depth=3
	v_add_f64 v[12:13], v[6:7], v[48:49]
	v_cmp_lt_i16_e32 vcc, 3, v15
	s_mov_b64 s[6:7], -1
	s_mov_b64 s[92:93], s[90:91]
	s_and_saveexec_b64 s[36:37], vcc
; %bb.114:                              ;   in Loop: Header=BB3_12 Depth=3
	v_cmp_eq_u16_e32 vcc, 4, v15
	s_andn2_b64 s[92:93], s[90:91], exec
	s_and_b64 s[94:95], vcc, exec
	s_xor_b64 s[6:7], exec, -1
	s_or_b64 s[92:93], s[92:93], s[94:95]
; %bb.115:                              ;   in Loop: Header=BB3_12 Depth=3
	s_or_b64 exec, exec, s[36:37]
	s_and_b64 s[94:95], s[6:7], exec
	s_andn2_b64 s[6:7], s[90:91], exec
	s_and_b64 s[36:37], s[92:93], exec
	s_or_b64 s[90:91], s[6:7], s[36:37]
	v_mov_b32_e32 v77, v15
	v_pk_mov_b32 v[58:59], v[52:53], v[52:53] op_sel:[0,1]
	v_pk_mov_b32 v[48:49], v[12:13], v[12:13] op_sel:[0,1]
	;; [unrolled: 1-line block ×5, first 2 shown]
	s_or_b64 exec, exec, s[0:1]
	s_and_saveexec_b64 s[0:1], s[90:91]
	s_cbranch_execz .LBB3_71
.LBB3_116:                              ;   in Loop: Header=BB3_12 Depth=3
	v_cmp_eq_u16_e32 vcc, 2, v15
	v_add_f64 v[58:59], v[52:53], 0
	s_and_b64 s[10:11], vcc, exec
	v_pk_mov_b32 v[60:61], v[64:65], v[64:65] op_sel:[0,1]
	s_or_b64 exec, exec, s[0:1]
	s_and_saveexec_b64 s[0:1], s[94:95]
	s_cbranch_execz .LBB3_72
.LBB3_117:                              ;   in Loop: Header=BB3_12 Depth=3
	v_cmp_eq_u16_e32 vcc, 0, v77
	s_andn2_b64 s[4:5], s[4:5], exec
	s_and_b64 s[6:7], vcc, exec
	s_or_b64 s[4:5], s[4:5], s[6:7]
	v_pk_mov_b32 v[58:59], v[52:53], v[52:53] op_sel:[0,1]
	v_pk_mov_b32 v[48:49], v[12:13], v[12:13] op_sel:[0,1]
	;; [unrolled: 1-line block ×4, first 2 shown]
                                        ; implicit-def: $vgpr64_vgpr65
	s_or_b64 exec, exec, s[0:1]
	s_and_saveexec_b64 s[0:1], s[4:5]
	s_cbranch_execz .LBB3_73
.LBB3_118:                              ;   in Loop: Header=BB3_12 Depth=3
	v_cmp_eq_u16_e32 vcc, 5, v15
	s_andn2_b64 s[4:5], s[10:11], exec
	s_and_b64 s[6:7], vcc, exec
	v_add_f64 v[26:27], v[8:9], v[26:27]
	s_or_b64 s[10:11], s[4:5], s[6:7]
	v_pk_mov_b32 v[58:59], v[52:53], v[52:53] op_sel:[0,1]
	v_pk_mov_b32 v[64:65], v[60:61], v[60:61] op_sel:[0,1]
	s_or_b64 exec, exec, s[0:1]
	s_and_saveexec_b64 s[0:1], s[10:11]
	s_cbranch_execnz .LBB3_74
	s_branch .LBB3_75
.LBB3_119:
	s_endpgm
	.section	.rodata,"a",@progbits
	.p2align	6, 0x0
	.amdhsa_kernel _Z20collide_and_stream_gIL12lattice_type19EEv8lbm_vars5BoxCUddbi
		.amdhsa_group_segment_fixed_size 0
		.amdhsa_private_segment_fixed_size 0
		.amdhsa_kernarg_size 424
		.amdhsa_user_sgpr_count 6
		.amdhsa_user_sgpr_private_segment_buffer 1
		.amdhsa_user_sgpr_dispatch_ptr 0
		.amdhsa_user_sgpr_queue_ptr 0
		.amdhsa_user_sgpr_kernarg_segment_ptr 1
		.amdhsa_user_sgpr_dispatch_id 0
		.amdhsa_user_sgpr_flat_scratch_init 0
		.amdhsa_user_sgpr_kernarg_preload_length 0
		.amdhsa_user_sgpr_kernarg_preload_offset 0
		.amdhsa_user_sgpr_private_segment_size 0
		.amdhsa_uses_dynamic_stack 0
		.amdhsa_system_sgpr_private_segment_wavefront_offset 0
		.amdhsa_system_sgpr_workgroup_id_x 1
		.amdhsa_system_sgpr_workgroup_id_y 1
		.amdhsa_system_sgpr_workgroup_id_z 1
		.amdhsa_system_sgpr_workgroup_info 0
		.amdhsa_system_vgpr_workitem_id 1
		.amdhsa_next_free_vgpr 137
		.amdhsa_next_free_sgpr 96
		.amdhsa_accum_offset 140
		.amdhsa_reserve_vcc 1
		.amdhsa_reserve_flat_scratch 0
		.amdhsa_float_round_mode_32 0
		.amdhsa_float_round_mode_16_64 0
		.amdhsa_float_denorm_mode_32 3
		.amdhsa_float_denorm_mode_16_64 3
		.amdhsa_dx10_clamp 1
		.amdhsa_ieee_mode 1
		.amdhsa_fp16_overflow 0
		.amdhsa_tg_split 0
		.amdhsa_exception_fp_ieee_invalid_op 0
		.amdhsa_exception_fp_denorm_src 0
		.amdhsa_exception_fp_ieee_div_zero 0
		.amdhsa_exception_fp_ieee_overflow 0
		.amdhsa_exception_fp_ieee_underflow 0
		.amdhsa_exception_fp_ieee_inexact 0
		.amdhsa_exception_int_div_zero 0
	.end_amdhsa_kernel
	.section	.text._Z20collide_and_stream_gIL12lattice_type19EEv8lbm_vars5BoxCUddbi,"axG",@progbits,_Z20collide_and_stream_gIL12lattice_type19EEv8lbm_vars5BoxCUddbi,comdat
.Lfunc_end3:
	.size	_Z20collide_and_stream_gIL12lattice_type19EEv8lbm_vars5BoxCUddbi, .Lfunc_end3-_Z20collide_and_stream_gIL12lattice_type19EEv8lbm_vars5BoxCUddbi
                                        ; -- End function
	.section	.AMDGPU.csdata,"",@progbits
; Kernel info:
; codeLenInByte = 7304
; NumSgprs: 100
; NumVgprs: 137
; NumAgprs: 0
; TotalNumVgprs: 137
; ScratchSize: 0
; MemoryBound: 0
; FloatMode: 240
; IeeeMode: 1
; LDSByteSize: 0 bytes/workgroup (compile time only)
; SGPRBlocks: 12
; VGPRBlocks: 17
; NumSGPRsForWavesPerEU: 100
; NumVGPRsForWavesPerEU: 137
; AccumOffset: 140
; Occupancy: 3
; WaveLimiterHint : 1
; COMPUTE_PGM_RSRC2:SCRATCH_EN: 0
; COMPUTE_PGM_RSRC2:USER_SGPR: 6
; COMPUTE_PGM_RSRC2:TRAP_HANDLER: 0
; COMPUTE_PGM_RSRC2:TGID_X_EN: 1
; COMPUTE_PGM_RSRC2:TGID_Y_EN: 1
; COMPUTE_PGM_RSRC2:TGID_Z_EN: 1
; COMPUTE_PGM_RSRC2:TIDIG_COMP_CNT: 1
; COMPUTE_PGM_RSRC3_GFX90A:ACCUM_OFFSET: 34
; COMPUTE_PGM_RSRC3_GFX90A:TG_SPLIT: 0
	.text
	.p2alignl 6, 3212836864
	.fill 256, 4, 3212836864
	.protected	C_dirs                  ; @C_dirs
	.type	C_dirs,@object
	.section	.rodata,"a",@progbits
	.globl	C_dirs
	.p2align	4, 0x0
C_dirs:
	.zero	81
	.size	C_dirs, 81

	.type	_ZL3C_p,@object                 ; @_ZL3C_p
	.globl	_ZL3C_p
_ZL3C_p:
	.zero	12
	.size	_ZL3C_p, 12

	.type	__hip_cuid_1b84cbe07e53a8e5,@object ; @__hip_cuid_1b84cbe07e53a8e5
	.section	.bss,"aw",@nobits
	.globl	__hip_cuid_1b84cbe07e53a8e5
__hip_cuid_1b84cbe07e53a8e5:
	.byte	0                               ; 0x0
	.size	__hip_cuid_1b84cbe07e53a8e5, 1

	.ident	"AMD clang version 19.0.0git (https://github.com/RadeonOpenCompute/llvm-project roc-6.4.0 25133 c7fe45cf4b819c5991fe208aaa96edf142730f1d)"
	.section	".note.GNU-stack","",@progbits
	.addrsig
	.addrsig_sym C_dirs
	.addrsig_sym _ZL3C_p
	.addrsig_sym __hip_cuid_1b84cbe07e53a8e5
	.amdgpu_metadata
---
amdhsa.kernels:
  - .agpr_count:     0
    .args:
      - .address_space:  global
        .offset:         0
        .size:           8
        .value_kind:     global_buffer
      - .actual_access:  write_only
        .address_space:  global
        .offset:         8
        .size:           8
        .value_kind:     global_buffer
      - .actual_access:  write_only
        .address_space:  global
        .offset:         16
        .size:           8
        .value_kind:     global_buffer
      - .offset:         24
        .size:           24
        .value_kind:     by_value
      - .offset:         48
        .size:           24
        .value_kind:     by_value
      - .offset:         72
        .size:           4
        .value_kind:     by_value
      - .offset:         76
        .size:           4
        .value_kind:     by_value
      - .offset:         80
        .size:           4
        .value_kind:     by_value
      - .offset:         84
        .size:           4
        .value_kind:     by_value
      - .offset:         88
        .size:           4
        .value_kind:     hidden_block_count_x
      - .offset:         92
        .size:           4
        .value_kind:     hidden_block_count_y
      - .offset:         96
        .size:           4
        .value_kind:     hidden_block_count_z
      - .offset:         100
        .size:           2
        .value_kind:     hidden_group_size_x
      - .offset:         102
        .size:           2
        .value_kind:     hidden_group_size_y
      - .offset:         104
        .size:           2
        .value_kind:     hidden_group_size_z
      - .offset:         106
        .size:           2
        .value_kind:     hidden_remainder_x
      - .offset:         108
        .size:           2
        .value_kind:     hidden_remainder_y
      - .offset:         110
        .size:           2
        .value_kind:     hidden_remainder_z
      - .offset:         128
        .size:           8
        .value_kind:     hidden_global_offset_x
      - .offset:         136
        .size:           8
        .value_kind:     hidden_global_offset_y
      - .offset:         144
        .size:           8
        .value_kind:     hidden_global_offset_z
      - .offset:         152
        .size:           2
        .value_kind:     hidden_grid_dims
    .group_segment_fixed_size: 0
    .kernarg_segment_align: 8
    .kernarg_segment_size: 344
    .language:       OpenCL C
    .language_version:
      - 2
      - 0
    .max_flat_workgroup_size: 1024
    .name:           _Z9make_flagPcPiS_5BoxCU10outer_walliiii
    .private_segment_fixed_size: 0
    .sgpr_count:     100
    .sgpr_spill_count: 32
    .symbol:         _Z9make_flagPcPiS_5BoxCU10outer_walliiii.kd
    .uniform_work_group_size: 1
    .uses_dynamic_stack: false
    .vgpr_count:     26
    .vgpr_spill_count: 0
    .wavefront_size: 64
  - .agpr_count:     0
    .args:
      - .address_space:  global
        .offset:         0
        .size:           8
        .value_kind:     global_buffer
      - .address_space:  global
        .offset:         8
        .size:           8
        .value_kind:     global_buffer
      - .address_space:  global
        .offset:         16
        .size:           8
        .value_kind:     global_buffer
      - .offset:         24
        .size:           24
        .value_kind:     by_value
      - .offset:         48
        .size:           4
        .value_kind:     by_value
      - .offset:         56
        .size:           4
        .value_kind:     hidden_block_count_x
      - .offset:         60
        .size:           4
        .value_kind:     hidden_block_count_y
      - .offset:         64
        .size:           4
        .value_kind:     hidden_block_count_z
      - .offset:         68
        .size:           2
        .value_kind:     hidden_group_size_x
      - .offset:         70
        .size:           2
        .value_kind:     hidden_group_size_y
      - .offset:         72
        .size:           2
        .value_kind:     hidden_group_size_z
      - .offset:         74
        .size:           2
        .value_kind:     hidden_remainder_x
      - .offset:         76
        .size:           2
        .value_kind:     hidden_remainder_y
      - .offset:         78
        .size:           2
        .value_kind:     hidden_remainder_z
      - .offset:         96
        .size:           8
        .value_kind:     hidden_global_offset_x
      - .offset:         104
        .size:           8
        .value_kind:     hidden_global_offset_y
      - .offset:         112
        .size:           8
        .value_kind:     hidden_global_offset_z
      - .offset:         120
        .size:           2
        .value_kind:     hidden_grid_dims
    .group_segment_fixed_size: 0
    .kernarg_segment_align: 8
    .kernarg_segment_size: 312
    .language:       OpenCL C
    .language_version:
      - 2
      - 0
    .max_flat_workgroup_size: 1024
    .name:           _Z9find_wallILi19EEvPcS0_Pi5BoxCUi
    .private_segment_fixed_size: 0
    .sgpr_count:     50
    .sgpr_spill_count: 0
    .symbol:         _Z9find_wallILi19EEvPcS0_Pi5BoxCUi.kd
    .uniform_work_group_size: 1
    .uses_dynamic_stack: false
    .vgpr_count:     27
    .vgpr_spill_count: 0
    .wavefront_size: 64
  - .agpr_count:     0
    .args:
      - .offset:         0
        .size:           120
        .value_kind:     by_value
      - .offset:         120
        .size:           24
        .value_kind:     by_value
      - .offset:         144
        .size:           24
        .value_kind:     by_value
      - .offset:         168
        .size:           8
        .value_kind:     by_value
      - .offset:         176
        .size:           4
        .value_kind:     by_value
      - .offset:         180
        .size:           4
        .value_kind:     by_value
      - .offset:         184
        .size:           4
        .value_kind:     by_value
      - .offset:         192
        .size:           8
        .value_kind:     by_value
      - .offset:         200
        .size:           4
        .value_kind:     hidden_block_count_x
      - .offset:         204
        .size:           4
        .value_kind:     hidden_block_count_y
      - .offset:         208
        .size:           4
        .value_kind:     hidden_block_count_z
      - .offset:         212
        .size:           2
        .value_kind:     hidden_group_size_x
      - .offset:         214
        .size:           2
        .value_kind:     hidden_group_size_y
      - .offset:         216
        .size:           2
        .value_kind:     hidden_group_size_z
      - .offset:         218
        .size:           2
        .value_kind:     hidden_remainder_x
      - .offset:         220
        .size:           2
        .value_kind:     hidden_remainder_y
      - .offset:         222
        .size:           2
        .value_kind:     hidden_remainder_z
      - .offset:         240
        .size:           8
        .value_kind:     hidden_global_offset_x
      - .offset:         248
        .size:           8
        .value_kind:     hidden_global_offset_y
      - .offset:         256
        .size:           8
        .value_kind:     hidden_global_offset_z
      - .offset:         264
        .size:           2
        .value_kind:     hidden_grid_dims
    .group_segment_fixed_size: 0
    .kernarg_segment_align: 8
    .kernarg_segment_size: 456
    .language:       OpenCL C
    .language_version:
      - 2
      - 0
    .max_flat_workgroup_size: 1024
    .name:           _Z15init_velocity_gIL12lattice_type19EEv8lbm_vars5BoxCUS2_dfffd
    .private_segment_fixed_size: 0
    .sgpr_count:     77
    .sgpr_spill_count: 0
    .symbol:         _Z15init_velocity_gIL12lattice_type19EEv8lbm_vars5BoxCUS2_dfffd.kd
    .uniform_work_group_size: 1
    .uses_dynamic_stack: false
    .vgpr_count:     74
    .vgpr_spill_count: 0
    .wavefront_size: 64
  - .agpr_count:     0
    .args:
      - .offset:         0
        .size:           120
        .value_kind:     by_value
      - .offset:         120
        .size:           24
        .value_kind:     by_value
      - .offset:         144
        .size:           8
        .value_kind:     by_value
      - .offset:         152
        .size:           8
        .value_kind:     by_value
      - .offset:         160
        .size:           1
        .value_kind:     by_value
      - .offset:         164
        .size:           4
        .value_kind:     by_value
      - .offset:         168
        .size:           4
        .value_kind:     hidden_block_count_x
      - .offset:         172
        .size:           4
        .value_kind:     hidden_block_count_y
      - .offset:         176
        .size:           4
        .value_kind:     hidden_block_count_z
      - .offset:         180
        .size:           2
        .value_kind:     hidden_group_size_x
      - .offset:         182
        .size:           2
        .value_kind:     hidden_group_size_y
      - .offset:         184
        .size:           2
        .value_kind:     hidden_group_size_z
      - .offset:         186
        .size:           2
        .value_kind:     hidden_remainder_x
      - .offset:         188
        .size:           2
        .value_kind:     hidden_remainder_y
      - .offset:         190
        .size:           2
        .value_kind:     hidden_remainder_z
      - .offset:         208
        .size:           8
        .value_kind:     hidden_global_offset_x
      - .offset:         216
        .size:           8
        .value_kind:     hidden_global_offset_y
      - .offset:         224
        .size:           8
        .value_kind:     hidden_global_offset_z
      - .offset:         232
        .size:           2
        .value_kind:     hidden_grid_dims
    .group_segment_fixed_size: 0
    .kernarg_segment_align: 8
    .kernarg_segment_size: 424
    .language:       OpenCL C
    .language_version:
      - 2
      - 0
    .max_flat_workgroup_size: 64
    .name:           _Z20collide_and_stream_gIL12lattice_type19EEv8lbm_vars5BoxCUddbi
    .private_segment_fixed_size: 0
    .sgpr_count:     100
    .sgpr_spill_count: 28
    .symbol:         _Z20collide_and_stream_gIL12lattice_type19EEv8lbm_vars5BoxCUddbi.kd
    .uniform_work_group_size: 1
    .uses_dynamic_stack: false
    .vgpr_count:     137
    .vgpr_spill_count: 0
    .wavefront_size: 64
amdhsa.target:   amdgcn-amd-amdhsa--gfx90a
amdhsa.version:
  - 1
  - 2
...

	.end_amdgpu_metadata
